;; amdgpu-corpus repo=ROCm/rocFFT kind=compiled arch=gfx1201 opt=O3
	.text
	.amdgcn_target "amdgcn-amd-amdhsa--gfx1201"
	.amdhsa_code_object_version 6
	.protected	fft_rtc_fwd_len1456_factors_13_4_7_2_2_wgs_182_tpt_182_halfLds_sp_ip_CI_sbrr_dirReg ; -- Begin function fft_rtc_fwd_len1456_factors_13_4_7_2_2_wgs_182_tpt_182_halfLds_sp_ip_CI_sbrr_dirReg
	.globl	fft_rtc_fwd_len1456_factors_13_4_7_2_2_wgs_182_tpt_182_halfLds_sp_ip_CI_sbrr_dirReg
	.p2align	8
	.type	fft_rtc_fwd_len1456_factors_13_4_7_2_2_wgs_182_tpt_182_halfLds_sp_ip_CI_sbrr_dirReg,@function
fft_rtc_fwd_len1456_factors_13_4_7_2_2_wgs_182_tpt_182_halfLds_sp_ip_CI_sbrr_dirReg: ; @fft_rtc_fwd_len1456_factors_13_4_7_2_2_wgs_182_tpt_182_halfLds_sp_ip_CI_sbrr_dirReg
; %bb.0:
	s_clause 0x2
	s_load_b64 s[12:13], s[0:1], 0x18
	s_load_b128 s[4:7], s[0:1], 0x0
	s_load_b64 s[10:11], s[0:1], 0x50
	v_mul_u32_u24_e32 v1, 0x169, v0
	v_mov_b32_e32 v3, 0
	s_delay_alu instid0(VALU_DEP_2) | instskip(NEXT) | instid1(VALU_DEP_1)
	v_lshrrev_b32_e32 v1, 16, v1
	v_add_nc_u32_e32 v5, ttmp9, v1
	v_mov_b32_e32 v1, 0
	v_mov_b32_e32 v2, 0
	;; [unrolled: 1-line block ×3, first 2 shown]
	s_wait_kmcnt 0x0
	s_load_b64 s[8:9], s[12:13], 0x0
	v_cmp_lt_u64_e64 s2, s[6:7], 2
	s_delay_alu instid0(VALU_DEP_1)
	s_and_b32 vcc_lo, exec_lo, s2
	s_cbranch_vccnz .LBB0_8
; %bb.1:
	s_load_b64 s[2:3], s[0:1], 0x10
	v_mov_b32_e32 v1, 0
	v_mov_b32_e32 v2, 0
	s_add_nc_u64 s[14:15], s[12:13], 8
	s_mov_b64 s[16:17], 1
	s_wait_kmcnt 0x0
	s_add_nc_u64 s[18:19], s[2:3], 8
	s_mov_b32 s3, 0
.LBB0_2:                                ; =>This Inner Loop Header: Depth=1
	s_load_b64 s[20:21], s[18:19], 0x0
                                        ; implicit-def: $vgpr9_vgpr10
	s_mov_b32 s2, exec_lo
	s_wait_kmcnt 0x0
	v_or_b32_e32 v4, s21, v6
	s_delay_alu instid0(VALU_DEP_1)
	v_cmpx_ne_u64_e32 0, v[3:4]
	s_wait_alu 0xfffe
	s_xor_b32 s22, exec_lo, s2
	s_cbranch_execz .LBB0_4
; %bb.3:                                ;   in Loop: Header=BB0_2 Depth=1
	s_cvt_f32_u32 s2, s20
	s_cvt_f32_u32 s23, s21
	s_sub_nc_u64 s[26:27], 0, s[20:21]
	s_wait_alu 0xfffe
	s_delay_alu instid0(SALU_CYCLE_1) | instskip(SKIP_1) | instid1(SALU_CYCLE_2)
	s_fmamk_f32 s2, s23, 0x4f800000, s2
	s_wait_alu 0xfffe
	v_s_rcp_f32 s2, s2
	s_delay_alu instid0(TRANS32_DEP_1) | instskip(SKIP_1) | instid1(SALU_CYCLE_2)
	s_mul_f32 s2, s2, 0x5f7ffffc
	s_wait_alu 0xfffe
	s_mul_f32 s23, s2, 0x2f800000
	s_wait_alu 0xfffe
	s_delay_alu instid0(SALU_CYCLE_2) | instskip(SKIP_1) | instid1(SALU_CYCLE_2)
	s_trunc_f32 s23, s23
	s_wait_alu 0xfffe
	s_fmamk_f32 s2, s23, 0xcf800000, s2
	s_cvt_u32_f32 s25, s23
	s_wait_alu 0xfffe
	s_delay_alu instid0(SALU_CYCLE_1) | instskip(SKIP_1) | instid1(SALU_CYCLE_2)
	s_cvt_u32_f32 s24, s2
	s_wait_alu 0xfffe
	s_mul_u64 s[28:29], s[26:27], s[24:25]
	s_wait_alu 0xfffe
	s_mul_hi_u32 s31, s24, s29
	s_mul_i32 s30, s24, s29
	s_mul_hi_u32 s2, s24, s28
	s_mul_i32 s33, s25, s28
	s_wait_alu 0xfffe
	s_add_nc_u64 s[30:31], s[2:3], s[30:31]
	s_mul_hi_u32 s23, s25, s28
	s_mul_hi_u32 s34, s25, s29
	s_add_co_u32 s2, s30, s33
	s_wait_alu 0xfffe
	s_add_co_ci_u32 s2, s31, s23
	s_mul_i32 s28, s25, s29
	s_add_co_ci_u32 s29, s34, 0
	s_wait_alu 0xfffe
	s_add_nc_u64 s[28:29], s[2:3], s[28:29]
	s_wait_alu 0xfffe
	v_add_co_u32 v4, s2, s24, s28
	s_delay_alu instid0(VALU_DEP_1) | instskip(SKIP_1) | instid1(VALU_DEP_1)
	s_cmp_lg_u32 s2, 0
	s_add_co_ci_u32 s25, s25, s29
	v_readfirstlane_b32 s24, v4
	s_wait_alu 0xfffe
	s_delay_alu instid0(VALU_DEP_1)
	s_mul_u64 s[26:27], s[26:27], s[24:25]
	s_wait_alu 0xfffe
	s_mul_hi_u32 s29, s24, s27
	s_mul_i32 s28, s24, s27
	s_mul_hi_u32 s2, s24, s26
	s_mul_i32 s30, s25, s26
	s_wait_alu 0xfffe
	s_add_nc_u64 s[28:29], s[2:3], s[28:29]
	s_mul_hi_u32 s23, s25, s26
	s_mul_hi_u32 s24, s25, s27
	s_wait_alu 0xfffe
	s_add_co_u32 s2, s28, s30
	s_add_co_ci_u32 s2, s29, s23
	s_mul_i32 s26, s25, s27
	s_add_co_ci_u32 s27, s24, 0
	s_wait_alu 0xfffe
	s_add_nc_u64 s[26:27], s[2:3], s[26:27]
	s_wait_alu 0xfffe
	v_add_co_u32 v4, s2, v4, s26
	s_delay_alu instid0(VALU_DEP_1) | instskip(SKIP_1) | instid1(VALU_DEP_1)
	s_cmp_lg_u32 s2, 0
	s_add_co_ci_u32 s2, s25, s27
	v_mul_hi_u32 v13, v5, v4
	s_wait_alu 0xfffe
	v_mad_co_u64_u32 v[7:8], null, v5, s2, 0
	v_mad_co_u64_u32 v[9:10], null, v6, v4, 0
	;; [unrolled: 1-line block ×3, first 2 shown]
	s_delay_alu instid0(VALU_DEP_3) | instskip(SKIP_1) | instid1(VALU_DEP_4)
	v_add_co_u32 v4, vcc_lo, v13, v7
	s_wait_alu 0xfffd
	v_add_co_ci_u32_e32 v7, vcc_lo, 0, v8, vcc_lo
	s_delay_alu instid0(VALU_DEP_2) | instskip(SKIP_1) | instid1(VALU_DEP_2)
	v_add_co_u32 v4, vcc_lo, v4, v9
	s_wait_alu 0xfffd
	v_add_co_ci_u32_e32 v4, vcc_lo, v7, v10, vcc_lo
	s_wait_alu 0xfffd
	v_add_co_ci_u32_e32 v7, vcc_lo, 0, v12, vcc_lo
	s_delay_alu instid0(VALU_DEP_2) | instskip(SKIP_1) | instid1(VALU_DEP_2)
	v_add_co_u32 v4, vcc_lo, v4, v11
	s_wait_alu 0xfffd
	v_add_co_ci_u32_e32 v9, vcc_lo, 0, v7, vcc_lo
	s_delay_alu instid0(VALU_DEP_2) | instskip(SKIP_1) | instid1(VALU_DEP_3)
	v_mul_lo_u32 v10, s21, v4
	v_mad_co_u64_u32 v[7:8], null, s20, v4, 0
	v_mul_lo_u32 v11, s20, v9
	s_delay_alu instid0(VALU_DEP_2) | instskip(NEXT) | instid1(VALU_DEP_2)
	v_sub_co_u32 v7, vcc_lo, v5, v7
	v_add3_u32 v8, v8, v11, v10
	s_delay_alu instid0(VALU_DEP_1) | instskip(SKIP_1) | instid1(VALU_DEP_1)
	v_sub_nc_u32_e32 v10, v6, v8
	s_wait_alu 0xfffd
	v_subrev_co_ci_u32_e64 v10, s2, s21, v10, vcc_lo
	v_add_co_u32 v11, s2, v4, 2
	s_wait_alu 0xf1ff
	v_add_co_ci_u32_e64 v12, s2, 0, v9, s2
	v_sub_co_u32 v13, s2, v7, s20
	v_sub_co_ci_u32_e32 v8, vcc_lo, v6, v8, vcc_lo
	s_wait_alu 0xf1ff
	v_subrev_co_ci_u32_e64 v10, s2, 0, v10, s2
	s_delay_alu instid0(VALU_DEP_3) | instskip(NEXT) | instid1(VALU_DEP_3)
	v_cmp_le_u32_e32 vcc_lo, s20, v13
	v_cmp_eq_u32_e64 s2, s21, v8
	s_wait_alu 0xfffd
	v_cndmask_b32_e64 v13, 0, -1, vcc_lo
	v_cmp_le_u32_e32 vcc_lo, s21, v10
	s_wait_alu 0xfffd
	v_cndmask_b32_e64 v14, 0, -1, vcc_lo
	v_cmp_le_u32_e32 vcc_lo, s20, v7
	;; [unrolled: 3-line block ×3, first 2 shown]
	s_wait_alu 0xfffd
	v_cndmask_b32_e64 v15, 0, -1, vcc_lo
	v_cmp_eq_u32_e32 vcc_lo, s21, v10
	s_wait_alu 0xf1ff
	s_delay_alu instid0(VALU_DEP_2)
	v_cndmask_b32_e64 v7, v15, v7, s2
	s_wait_alu 0xfffd
	v_cndmask_b32_e32 v10, v14, v13, vcc_lo
	v_add_co_u32 v13, vcc_lo, v4, 1
	s_wait_alu 0xfffd
	v_add_co_ci_u32_e32 v14, vcc_lo, 0, v9, vcc_lo
	s_delay_alu instid0(VALU_DEP_3) | instskip(SKIP_1) | instid1(VALU_DEP_2)
	v_cmp_ne_u32_e32 vcc_lo, 0, v10
	s_wait_alu 0xfffd
	v_dual_cndmask_b32 v11, v13, v11 :: v_dual_cndmask_b32 v8, v14, v12
	v_cmp_ne_u32_e32 vcc_lo, 0, v7
	s_wait_alu 0xfffd
	s_delay_alu instid0(VALU_DEP_2)
	v_dual_cndmask_b32 v10, v9, v8 :: v_dual_cndmask_b32 v9, v4, v11
.LBB0_4:                                ;   in Loop: Header=BB0_2 Depth=1
	s_wait_alu 0xfffe
	s_and_not1_saveexec_b32 s2, s22
	s_cbranch_execz .LBB0_6
; %bb.5:                                ;   in Loop: Header=BB0_2 Depth=1
	v_cvt_f32_u32_e32 v4, s20
	s_sub_co_i32 s22, 0, s20
	v_mov_b32_e32 v10, v3
	s_delay_alu instid0(VALU_DEP_2) | instskip(NEXT) | instid1(TRANS32_DEP_1)
	v_rcp_iflag_f32_e32 v4, v4
	v_mul_f32_e32 v4, 0x4f7ffffe, v4
	s_delay_alu instid0(VALU_DEP_1) | instskip(SKIP_1) | instid1(VALU_DEP_1)
	v_cvt_u32_f32_e32 v4, v4
	s_wait_alu 0xfffe
	v_mul_lo_u32 v7, s22, v4
	s_delay_alu instid0(VALU_DEP_1) | instskip(NEXT) | instid1(VALU_DEP_1)
	v_mul_hi_u32 v7, v4, v7
	v_add_nc_u32_e32 v4, v4, v7
	s_delay_alu instid0(VALU_DEP_1) | instskip(NEXT) | instid1(VALU_DEP_1)
	v_mul_hi_u32 v4, v5, v4
	v_mul_lo_u32 v7, v4, s20
	v_add_nc_u32_e32 v8, 1, v4
	s_delay_alu instid0(VALU_DEP_2) | instskip(NEXT) | instid1(VALU_DEP_1)
	v_sub_nc_u32_e32 v7, v5, v7
	v_subrev_nc_u32_e32 v9, s20, v7
	v_cmp_le_u32_e32 vcc_lo, s20, v7
	s_wait_alu 0xfffd
	s_delay_alu instid0(VALU_DEP_2) | instskip(NEXT) | instid1(VALU_DEP_1)
	v_dual_cndmask_b32 v7, v7, v9 :: v_dual_cndmask_b32 v4, v4, v8
	v_cmp_le_u32_e32 vcc_lo, s20, v7
	s_delay_alu instid0(VALU_DEP_2) | instskip(SKIP_1) | instid1(VALU_DEP_1)
	v_add_nc_u32_e32 v8, 1, v4
	s_wait_alu 0xfffd
	v_cndmask_b32_e32 v9, v4, v8, vcc_lo
.LBB0_6:                                ;   in Loop: Header=BB0_2 Depth=1
	s_wait_alu 0xfffe
	s_or_b32 exec_lo, exec_lo, s2
	s_load_b64 s[22:23], s[14:15], 0x0
	v_mul_lo_u32 v4, v10, s20
	v_mul_lo_u32 v11, v9, s21
	v_mad_co_u64_u32 v[7:8], null, v9, s20, 0
	s_add_nc_u64 s[16:17], s[16:17], 1
	s_add_nc_u64 s[14:15], s[14:15], 8
	s_wait_alu 0xfffe
	v_cmp_ge_u64_e64 s2, s[16:17], s[6:7]
	s_add_nc_u64 s[18:19], s[18:19], 8
	s_delay_alu instid0(VALU_DEP_2) | instskip(NEXT) | instid1(VALU_DEP_3)
	v_add3_u32 v4, v8, v11, v4
	v_sub_co_u32 v5, vcc_lo, v5, v7
	s_wait_alu 0xfffd
	s_delay_alu instid0(VALU_DEP_2) | instskip(SKIP_3) | instid1(VALU_DEP_2)
	v_sub_co_ci_u32_e32 v4, vcc_lo, v6, v4, vcc_lo
	s_and_b32 vcc_lo, exec_lo, s2
	s_wait_kmcnt 0x0
	v_mul_lo_u32 v6, s23, v5
	v_mul_lo_u32 v4, s22, v4
	v_mad_co_u64_u32 v[1:2], null, s22, v5, v[1:2]
	s_delay_alu instid0(VALU_DEP_1)
	v_add3_u32 v2, v6, v2, v4
	s_wait_alu 0xfffe
	s_cbranch_vccnz .LBB0_9
; %bb.7:                                ;   in Loop: Header=BB0_2 Depth=1
	v_dual_mov_b32 v5, v9 :: v_dual_mov_b32 v6, v10
	s_branch .LBB0_2
.LBB0_8:
	v_dual_mov_b32 v10, v6 :: v_dual_mov_b32 v9, v5
.LBB0_9:
	s_lshl_b64 s[2:3], s[6:7], 3
	v_mul_hi_u32 v4, 0x1681682, v0
	s_wait_alu 0xfffe
	s_add_nc_u64 s[2:3], s[12:13], s[2:3]
                                        ; implicit-def: $vgpr7
                                        ; implicit-def: $vgpr37
                                        ; implicit-def: $vgpr35
                                        ; implicit-def: $vgpr33
                                        ; implicit-def: $vgpr20
                                        ; implicit-def: $vgpr30
                                        ; implicit-def: $vgpr26
                                        ; implicit-def: $vgpr22
                                        ; implicit-def: $vgpr24
                                        ; implicit-def: $vgpr28
	s_load_b64 s[2:3], s[2:3], 0x0
	s_load_b64 s[0:1], s[0:1], 0x20
	s_wait_kmcnt 0x0
	v_mul_lo_u32 v5, s2, v10
	v_mul_lo_u32 v6, s3, v9
	v_mad_co_u64_u32 v[2:3], null, s2, v9, v[1:2]
	v_mul_u32_u24_e32 v1, 0xb6, v4
	v_cmp_gt_u64_e32 vcc_lo, s[0:1], v[9:10]
	s_delay_alu instid0(VALU_DEP_2) | instskip(NEXT) | instid1(VALU_DEP_4)
	v_sub_nc_u32_e32 v8, v0, v1
	v_add3_u32 v3, v6, v3, v5
	v_dual_mov_b32 v1, 0 :: v_dual_mov_b32 v0, 0
                                        ; implicit-def: $vgpr5
	s_delay_alu instid0(VALU_DEP_3) | instskip(NEXT) | instid1(VALU_DEP_3)
	v_cmp_gt_u32_e64 s0, 0x70, v8
	v_lshlrev_b64_e32 v[10:11], 3, v[2:3]
                                        ; implicit-def: $vgpr3
	s_delay_alu instid0(VALU_DEP_2)
	s_and_b32 s1, vcc_lo, s0
	s_wait_alu 0xfffe
	s_and_saveexec_b32 s2, s1
	s_cbranch_execz .LBB0_11
; %bb.10:
	v_add_nc_u32_e32 v9, 0x70, v8
	v_mad_co_u64_u32 v[0:1], null, s8, v8, 0
	v_add_nc_u32_e32 v15, 0xe0, v8
	v_add_nc_u32_e32 v17, 0x1c0, v8
	s_delay_alu instid0(VALU_DEP_4) | instskip(SKIP_1) | instid1(VALU_DEP_4)
	v_mad_co_u64_u32 v[2:3], null, s8, v9, 0
	v_add_co_u32 v40, s1, s10, v10
	v_mad_co_u64_u32 v[4:5], null, s8, v15, 0
	s_wait_alu 0xf1ff
	v_add_co_ci_u32_e64 v41, s1, s11, v11, s1
	s_delay_alu instid0(VALU_DEP_4)
	v_mad_co_u64_u32 v[12:13], null, s9, v8, v[1:2]
	v_add_nc_u32_e32 v16, 0x150, v8
	v_add_nc_u32_e32 v23, 0x310, v8
	v_mad_co_u64_u32 v[13:14], null, s9, v9, v[3:4]
	v_or_b32_e32 v25, 0x380, v8
	v_dual_mov_b32 v1, v12 :: v_dual_add_nc_u32 v20, 0x230, v8
	v_mad_co_u64_u32 v[6:7], null, s8, v16, 0
	s_delay_alu instid0(VALU_DEP_4) | instskip(NEXT) | instid1(VALU_DEP_3)
	v_dual_mov_b32 v3, v13 :: v_dual_add_nc_u32 v22, 0x2a0, v8
	v_lshlrev_b64_e32 v[0:1], 3, v[0:1]
	v_add_nc_u32_e32 v30, 0x460, v8
	v_add_nc_u32_e32 v42, 0x4d0, v8
	v_mad_co_u64_u32 v[12:13], null, s9, v15, v[5:6]
	v_mad_co_u64_u32 v[13:14], null, s9, v16, v[7:8]
	;; [unrolled: 1-line block ×3, first 2 shown]
	v_lshlrev_b64_e32 v[2:3], 3, v[2:3]
	v_add_co_u32 v0, s1, v40, v0
	v_mov_b32_e32 v5, v12
	v_mov_b32_e32 v7, v13
	s_wait_alu 0xf1ff
	v_add_co_ci_u32_e64 v1, s1, v41, v1, s1
	v_mov_b32_e32 v9, v15
	v_lshlrev_b64_e32 v[4:5], 3, v[4:5]
	v_add_co_u32 v2, s1, v40, v2
	v_lshlrev_b64_e32 v[6:7], 3, v[6:7]
	s_delay_alu instid0(VALU_DEP_4)
	v_mad_co_u64_u32 v[12:13], null, s9, v17, v[9:10]
	v_mad_co_u64_u32 v[16:17], null, s8, v20, 0
	s_wait_alu 0xf1ff
	v_add_co_ci_u32_e64 v3, s1, v41, v3, s1
	v_add_co_u32 v4, s1, v40, v4
	s_wait_alu 0xf1ff
	v_add_co_ci_u32_e64 v5, s1, v41, v5, s1
	v_add_co_u32 v18, s1, v40, v6
	v_dual_mov_b32 v6, v17 :: v_dual_mov_b32 v15, v12
	v_mad_co_u64_u32 v[12:13], null, s8, v22, 0
	s_wait_alu 0xf1ff
	v_add_co_ci_u32_e64 v19, s1, v41, v7, s1
	s_delay_alu instid0(VALU_DEP_3)
	v_mad_co_u64_u32 v[20:21], null, s9, v20, v[6:7]
	s_clause 0x3
	global_load_b64 v[0:1], v[0:1], off
	global_load_b64 v[6:7], v[2:3], off
	;; [unrolled: 1-line block ×4, first 2 shown]
	v_mad_co_u64_u32 v[18:19], null, s8, v23, 0
	v_mov_b32_e32 v9, v13
	v_lshlrev_b64_e32 v[14:15], 3, v[14:15]
	v_mad_co_u64_u32 v[28:29], null, s8, v42, 0
	v_mov_b32_e32 v17, v20
	s_delay_alu instid0(VALU_DEP_4) | instskip(SKIP_2) | instid1(VALU_DEP_4)
	v_mad_co_u64_u32 v[20:21], null, s9, v22, v[9:10]
	v_mov_b32_e32 v9, v19
	v_mad_co_u64_u32 v[21:22], null, s8, v25, 0
	v_lshlrev_b64_e32 v[16:17], 3, v[16:17]
	v_add_co_u32 v14, s1, v40, v14
	v_mov_b32_e32 v13, v20
	v_mad_co_u64_u32 v[19:20], null, s9, v23, v[9:10]
	v_dual_mov_b32 v9, v22 :: v_dual_add_nc_u32 v20, 0x3f0, v8
	s_delay_alu instid0(VALU_DEP_3) | instskip(SKIP_2) | instid1(VALU_DEP_3)
	v_lshlrev_b64_e32 v[12:13], 3, v[12:13]
	s_wait_alu 0xf1ff
	v_add_co_ci_u32_e64 v15, s1, v41, v15, s1
	v_mad_co_u64_u32 v[23:24], null, s8, v20, 0
	v_mad_co_u64_u32 v[25:26], null, s9, v25, v[9:10]
	;; [unrolled: 1-line block ×3, first 2 shown]
	v_add_co_u32 v16, s1, v40, v16
	s_delay_alu instid0(VALU_DEP_4)
	v_mov_b32_e32 v9, v24
	v_lshlrev_b64_e32 v[18:19], 3, v[18:19]
	v_mov_b32_e32 v22, v25
	s_wait_alu 0xf1ff
	v_add_co_ci_u32_e64 v17, s1, v41, v17, s1
	v_mad_co_u64_u32 v[24:25], null, s9, v20, v[9:10]
	v_add_nc_u32_e32 v25, 0x540, v8
	v_mov_b32_e32 v9, v27
	v_add_co_u32 v12, s1, v40, v12
	s_wait_alu 0xf1ff
	v_add_co_ci_u32_e64 v13, s1, v41, v13, s1
	v_mad_co_u64_u32 v[38:39], null, s8, v25, 0
	v_mad_co_u64_u32 v[30:31], null, s9, v30, v[9:10]
	v_mov_b32_e32 v9, v29
	v_add_co_u32 v18, s1, v40, v18
	s_wait_alu 0xf1ff
	v_add_co_ci_u32_e64 v19, s1, v41, v19, s1
	s_clause 0x3
	global_load_b64 v[36:37], v[14:15], off
	global_load_b64 v[34:35], v[16:17], off
	;; [unrolled: 1-line block ×4, first 2 shown]
	v_mad_co_u64_u32 v[14:15], null, s9, v42, v[9:10]
	v_mov_b32_e32 v9, v39
	v_lshlrev_b64_e32 v[12:13], 3, v[21:22]
	v_mov_b32_e32 v27, v30
	v_lshlrev_b64_e32 v[15:16], 3, v[23:24]
	s_delay_alu instid0(VALU_DEP_4) | instskip(NEXT) | instid1(VALU_DEP_4)
	v_mad_co_u64_u32 v[17:18], null, s9, v25, v[9:10]
	v_add_co_u32 v12, s1, v40, v12
	s_delay_alu instid0(VALU_DEP_4)
	v_lshlrev_b64_e32 v[21:22], 3, v[26:27]
	v_mov_b32_e32 v29, v14
	s_wait_alu 0xf1ff
	v_add_co_ci_u32_e64 v13, s1, v41, v13, s1
	v_add_co_u32 v14, s1, v40, v15
	v_mov_b32_e32 v39, v17
	s_wait_alu 0xf1ff
	v_add_co_ci_u32_e64 v15, s1, v41, v16, s1
	v_lshlrev_b64_e32 v[23:24], 3, v[28:29]
	v_add_co_u32 v16, s1, v40, v21
	s_wait_alu 0xf1ff
	v_add_co_ci_u32_e64 v17, s1, v41, v22, s1
	v_lshlrev_b64_e32 v[21:22], 3, v[38:39]
	s_delay_alu instid0(VALU_DEP_4) | instskip(SKIP_2) | instid1(VALU_DEP_3)
	v_add_co_u32 v23, s1, v40, v23
	s_wait_alu 0xf1ff
	v_add_co_ci_u32_e64 v24, s1, v41, v24, s1
	v_add_co_u32 v38, s1, v40, v21
	s_wait_alu 0xf1ff
	v_add_co_ci_u32_e64 v39, s1, v41, v22, s1
	s_clause 0x4
	global_load_b64 v[29:30], v[12:13], off
	global_load_b64 v[25:26], v[14:15], off
	;; [unrolled: 1-line block ×5, first 2 shown]
.LBB0_11:
	s_wait_alu 0xfffe
	s_or_b32 exec_lo, exec_lo, s2
	s_wait_loadcnt 0x0
	v_dual_add_f32 v55, v6, v23 :: v_dual_sub_f32 v62, v7, v24
	v_add_f32_e32 v58, v4, v21
	v_dual_sub_f32 v66, v3, v28 :: v_dual_add_f32 v71, v34, v29
	s_delay_alu instid0(VALU_DEP_3) | instskip(SKIP_4) | instid1(VALU_DEP_4)
	v_mul_f32_e32 v9, 0x3f116cb1, v55
	v_mul_f32_e32 v12, 0x3f62ad3f, v55
	v_sub_f32_e32 v60, v5, v22
	v_mul_f32_e32 v18, 0x3f116cb1, v58
	v_dual_mul_f32 v48, 0xbeb58ec6, v55 :: v_dual_mul_f32 v31, 0xbeb58ec6, v58
	v_fmamk_f32 v13, v62, 0xbeedf032, v12
	s_delay_alu instid0(VALU_DEP_3) | instskip(SKIP_1) | instid1(VALU_DEP_3)
	v_dual_fmamk_f32 v14, v62, 0xbf52af12, v9 :: v_dual_fmamk_f32 v39, v60, 0xbf52af12, v18
	v_dual_add_f32 v64, v2, v27 :: v_dual_mul_f32 v41, 0xbf788fa5, v58
	v_dual_add_f32 v13, v0, v13 :: v_dual_mul_f32 v56, 0xbf3f9e67, v55
	s_delay_alu instid0(VALU_DEP_3) | instskip(SKIP_1) | instid1(VALU_DEP_3)
	v_add_f32_e32 v14, v0, v14
	v_mul_f32_e32 v63, 0x3df6dbef, v58
	v_dual_fmamk_f32 v42, v60, 0xbe750f2a, v41 :: v_dual_add_f32 v13, v39, v13
	s_delay_alu instid0(VALU_DEP_4) | instskip(SKIP_3) | instid1(VALU_DEP_4)
	v_fmamk_f32 v17, v62, 0xbf29c268, v56
	v_mul_f32_e32 v38, 0x3df6dbef, v55
	v_dual_mul_f32 v67, 0x3f116cb1, v64 :: v_dual_add_f32 v68, v36, v25
	v_mul_f32_e32 v59, 0x3f62ad3f, v64
	v_add_f32_e32 v17, v0, v17
	s_delay_alu instid0(VALU_DEP_4) | instskip(NEXT) | instid1(VALU_DEP_4)
	v_fmamk_f32 v15, v62, 0xbf7e222b, v38
	v_fmamk_f32 v47, v66, 0xbf52af12, v67
	;; [unrolled: 1-line block ×4, first 2 shown]
	v_dual_mul_f32 v70, 0xbf788fa5, v68 :: v_dual_mul_f32 v57, 0xbf788fa5, v71
	v_add_f32_e32 v15, v0, v15
	v_fmamk_f32 v40, v60, 0xbf6f5d39, v31
	v_mul_f32_e32 v39, 0x3df6dbef, v64
	v_add_f32_e32 v17, v44, v17
	s_delay_alu instid0(VALU_DEP_4) | instskip(NEXT) | instid1(VALU_DEP_3)
	v_dual_add_f32 v16, v0, v16 :: v_dual_add_f32 v15, v42, v15
	v_dual_add_f32 v14, v40, v14 :: v_dual_fmamk_f32 v45, v66, 0xbf7e222b, v39
	v_mul_f32_e32 v44, 0xbeb58ec6, v64
	v_mul_f32_e32 v54, 0xbf3f9e67, v58
	v_dual_mul_f32 v40, 0xbf788fa5, v64 :: v_dual_sub_f32 v69, v37, v26
	s_delay_alu instid0(VALU_DEP_4) | instskip(NEXT) | instid1(VALU_DEP_4)
	v_add_f32_e32 v13, v13, v45
	v_dual_fmamk_f32 v45, v66, 0x3f6f5d39, v44 :: v_dual_sub_f32 v74, v35, v30
	s_delay_alu instid0(VALU_DEP_3) | instskip(NEXT) | instid1(VALU_DEP_2)
	v_dual_add_f32 v73, v32, v19 :: v_dual_fmamk_f32 v50, v69, 0x3e750f2a, v70
	v_dual_mul_f32 v72, 0x3f62ad3f, v71 :: v_dual_add_f32 v15, v15, v45
	s_delay_alu instid0(VALU_DEP_3)
	v_fmamk_f32 v53, v74, 0x3e750f2a, v57
	v_mul_f32_e32 v42, 0xbeb58ec6, v68
	v_mul_f32_e32 v52, 0x3df6dbef, v68
	;; [unrolled: 1-line block ×3, first 2 shown]
	v_sub_f32_e32 v75, v33, v20
	v_fmamk_f32 v61, v74, 0x3eedf032, v72
	v_fmamk_f32 v49, v69, 0xbf6f5d39, v42
	;; [unrolled: 1-line block ×3, first 2 shown]
	s_delay_alu instid0(VALU_DEP_2) | instskip(NEXT) | instid1(VALU_DEP_2)
	v_dual_fmamk_f32 v80, v75, 0xbf6f5d39, v65 :: v_dual_add_f32 v13, v49, v13
	v_dual_fmamk_f32 v43, v60, 0x3f29c268, v54 :: v_dual_add_f32 v14, v14, v46
	v_fmamk_f32 v46, v66, 0x3eedf032, v59
	s_delay_alu instid0(VALU_DEP_2) | instskip(NEXT) | instid1(VALU_DEP_1)
	v_dual_fmamk_f32 v49, v69, 0xbf7e222b, v52 :: v_dual_add_f32 v16, v43, v16
	v_dual_mul_f32 v43, 0xbf3f9e67, v68 :: v_dual_add_f32 v16, v16, v46
	s_delay_alu instid0(VALU_DEP_1) | instskip(NEXT) | instid1(VALU_DEP_1)
	v_dual_add_f32 v16, v49, v16 :: v_dual_mul_f32 v49, 0x3f116cb1, v71
	v_add_f32_e32 v16, v53, v16
	s_delay_alu instid0(VALU_DEP_3) | instskip(NEXT) | instid1(VALU_DEP_1)
	v_fmamk_f32 v45, v69, 0x3f29c268, v43
	v_dual_mul_f32 v53, 0xbf3f9e67, v73 :: v_dual_add_f32 v14, v45, v14
	v_add_f32_e32 v17, v17, v47
	v_mul_f32_e32 v47, 0x3f62ad3f, v68
	v_mul_f32_e32 v45, 0xbf3f9e67, v71
	s_delay_alu instid0(VALU_DEP_3) | instskip(NEXT) | instid1(VALU_DEP_2)
	v_add_f32_e32 v17, v50, v17
	v_fmamk_f32 v50, v74, 0xbf29c268, v45
	s_delay_alu instid0(VALU_DEP_4) | instskip(NEXT) | instid1(VALU_DEP_3)
	v_fmamk_f32 v46, v69, 0x3eedf032, v47
	v_add_f32_e32 v77, v61, v17
	v_mul_f32_e32 v61, 0x3f116cb1, v73
	s_delay_alu instid0(VALU_DEP_4) | instskip(NEXT) | instid1(VALU_DEP_4)
	v_add_f32_e32 v13, v50, v13
	v_add_f32_e32 v15, v46, v15
	v_mul_f32_e32 v46, 0x3df6dbef, v71
	v_fmamk_f32 v50, v74, 0xbf52af12, v49
	v_fmamk_f32 v78, v75, 0xbf29c268, v53
	;; [unrolled: 1-line block ×3, first 2 shown]
	s_delay_alu instid0(VALU_DEP_4) | instskip(NEXT) | instid1(VALU_DEP_4)
	v_fmamk_f32 v51, v74, 0x3f7e222b, v46
	v_add_f32_e32 v76, v50, v15
	v_mul_f32_e32 v50, 0xbf788fa5, v73
	s_delay_alu instid0(VALU_DEP_3) | instskip(SKIP_1) | instid1(VALU_DEP_2)
	v_dual_add_f32 v14, v51, v14 :: v_dual_mul_f32 v51, 0x3f62ad3f, v73
	v_add_f32_e32 v16, v79, v16
	v_fmamk_f32 v17, v75, 0x3eedf032, v51
	s_delay_alu instid0(VALU_DEP_1) | instskip(SKIP_1) | instid1(VALU_DEP_1)
	v_dual_add_f32 v14, v17, v14 :: v_dual_add_f32 v17, v78, v76
	v_fmamk_f32 v15, v75, 0xbe750f2a, v50
	v_add_f32_e32 v15, v15, v13
	v_add_f32_e32 v13, v80, v77
	s_and_saveexec_b32 s1, s0
	s_cbranch_execz .LBB0_13
; %bb.12:
	v_mul_f32_e32 v76, 0xbe750f2a, v62
	v_mul_f32_e32 v87, 0x3f52af12, v69
	;; [unrolled: 1-line block ×4, first 2 shown]
	v_dual_mul_f32 v78, 0xbf52af12, v62 :: v_dual_mul_f32 v85, 0xbf52af12, v60
	v_fmamk_f32 v81, v55, 0xbf788fa5, v76
	v_fmamk_f32 v91, v68, 0x3f116cb1, v87
	s_delay_alu instid0(VALU_DEP_3) | instskip(NEXT) | instid1(VALU_DEP_4)
	v_dual_fmamk_f32 v88, v64, 0xbf3f9e67, v83 :: v_dual_sub_f32 v9, v9, v78
	v_sub_f32_e32 v18, v18, v85
	s_delay_alu instid0(VALU_DEP_4) | instskip(SKIP_2) | instid1(VALU_DEP_2)
	v_dual_add_f32 v81, v0, v81 :: v_dual_mul_f32 v80, 0x3eedf032, v60
	v_fma_f32 v55, 0xbf788fa5, v55, -v76
	v_fmamk_f32 v76, v71, 0xbeb58ec6, v90
	v_dual_fmamk_f32 v84, v58, 0x3f62ad3f, v80 :: v_dual_add_f32 v55, v0, v55
	s_delay_alu instid0(VALU_DEP_1) | instskip(SKIP_3) | instid1(VALU_DEP_4)
	v_dual_add_f32 v81, v84, v81 :: v_dual_mul_f32 v82, 0xbf6f5d39, v62
	v_mul_f32_e32 v84, 0xbe750f2a, v60
	v_fma_f32 v58, 0x3f62ad3f, v58, -v80
	v_mul_f32_e32 v86, 0xbf6f5d39, v60
	v_dual_add_f32 v81, v81, v88 :: v_dual_mul_f32 v88, 0xbf7e222b, v66
	s_delay_alu instid0(VALU_DEP_3) | instskip(SKIP_1) | instid1(VALU_DEP_3)
	v_dual_mul_f32 v80, 0x3f6f5d39, v66 :: v_dual_add_f32 v55, v58, v55
	v_mul_f32_e32 v58, 0xbf6f5d39, v69
	v_add_f32_e32 v81, v91, v81
	v_mul_f32_e32 v77, 0xbeedf032, v62
	v_mul_f32_e32 v91, 0xbe750f2a, v66
	v_dual_sub_f32 v48, v48, v82 :: v_dual_sub_f32 v41, v41, v84
	s_delay_alu instid0(VALU_DEP_4)
	v_dual_add_f32 v76, v76, v81 :: v_dual_mul_f32 v81, 0x3eedf032, v66
	v_mul_f32_e32 v66, 0xbf52af12, v66
	v_mul_f32_e32 v89, 0x3f29c268, v60
	v_mul_f32_e32 v60, 0x3f7e222b, v60
	v_mul_f32_e32 v79, 0xbf7e222b, v62
	v_mul_f32_e32 v62, 0xbf29c268, v62
	v_sub_f32_e32 v66, v67, v66
	v_dual_mul_f32 v67, 0x3e750f2a, v74 :: v_dual_add_f32 v48, v0, v48
	v_sub_f32_e32 v60, v63, v60
	s_delay_alu instid0(VALU_DEP_4)
	v_sub_f32_e32 v56, v56, v62
	v_mul_f32_e32 v62, 0x3eedf032, v69
	v_mul_f32_e32 v63, 0xbf7e222b, v69
	v_sub_f32_e32 v54, v54, v89
	v_sub_f32_e32 v12, v12, v77
	v_add_f32_e32 v56, v0, v56
	v_fma_f32 v64, 0xbf3f9e67, v64, -v83
	v_sub_f32_e32 v52, v52, v63
	v_add_f32_e32 v48, v54, v48
	v_add_f32_e32 v12, v0, v12
	v_dual_add_f32 v56, v60, v56 :: v_dual_mul_f32 v83, 0x3f29c268, v69
	v_mul_f32_e32 v69, 0x3e750f2a, v69
	v_add_f32_e32 v55, v55, v64
	v_fma_f32 v68, 0x3f116cb1, v68, -v87
	v_mul_f32_e32 v64, 0xbf29c268, v74
	s_delay_alu instid0(VALU_DEP_4)
	v_dual_add_f32 v56, v56, v66 :: v_dual_sub_f32 v69, v70, v69
	v_mul_f32_e32 v70, 0xbf29c268, v75
	v_sub_f32_e32 v38, v38, v79
	v_add_f32_e32 v55, v68, v55
	v_fma_f32 v71, 0xbeb58ec6, v71, -v90
	v_dual_mul_f32 v90, 0x3f7e222b, v75 :: v_dual_mul_f32 v87, 0x3f7e222b, v74
	s_delay_alu instid0(VALU_DEP_4) | instskip(NEXT) | instid1(VALU_DEP_3)
	v_add_f32_e32 v38, v0, v38
	v_dual_add_f32 v12, v18, v12 :: v_dual_add_f32 v55, v71, v55
	v_mul_f32_e32 v60, 0xbf52af12, v74
	s_delay_alu instid0(VALU_DEP_4) | instskip(NEXT) | instid1(VALU_DEP_4)
	v_dual_add_f32 v71, v0, v6 :: v_dual_fmamk_f32 v82, v73, 0x3df6dbef, v90
	v_dual_add_f32 v38, v41, v38 :: v_dual_sub_f32 v41, v44, v80
	v_sub_f32_e32 v54, v59, v81
	v_dual_add_f32 v0, v0, v9 :: v_dual_sub_f32 v9, v31, v86
	v_fma_f32 v59, 0x3df6dbef, v73, -v90
	s_delay_alu instid0(VALU_DEP_4) | instskip(SKIP_1) | instid1(VALU_DEP_4)
	v_dual_add_f32 v38, v38, v41 :: v_dual_mul_f32 v89, 0x3f52af12, v75
	v_add_f32_e32 v76, v82, v76
	v_dual_add_f32 v0, v9, v0 :: v_dual_sub_f32 v9, v40, v91
	v_add_f32_e32 v48, v48, v54
	v_add_f32_e32 v54, v71, v4
	s_delay_alu instid0(VALU_DEP_3) | instskip(NEXT) | instid1(VALU_DEP_3)
	v_add_f32_e32 v0, v0, v9
	v_add_f32_e32 v48, v52, v48
	s_delay_alu instid0(VALU_DEP_3) | instskip(SKIP_1) | instid1(VALU_DEP_2)
	v_dual_add_f32 v52, v54, v2 :: v_dual_sub_f32 v9, v43, v83
	v_sub_f32_e32 v54, v57, v67
	v_add_f32_e32 v44, v52, v36
	v_mul_f32_e32 v66, 0x3eedf032, v75
	s_delay_alu instid0(VALU_DEP_4) | instskip(NEXT) | instid1(VALU_DEP_3)
	v_add_f32_e32 v0, v9, v0
	v_dual_sub_f32 v52, v61, v89 :: v_dual_add_f32 v41, v44, v34
	v_mul_f32_e32 v74, 0x3eedf032, v74
	v_sub_f32_e32 v44, v47, v62
	v_add_f32_e32 v56, v69, v56
	s_delay_alu instid0(VALU_DEP_4) | instskip(NEXT) | instid1(VALU_DEP_4)
	v_dual_add_f32 v41, v41, v32 :: v_dual_mul_f32 v68, 0xbe750f2a, v75
	v_sub_f32_e32 v69, v72, v74
	s_delay_alu instid0(VALU_DEP_4) | instskip(NEXT) | instid1(VALU_DEP_3)
	v_dual_add_f32 v31, v44, v38 :: v_dual_sub_f32 v38, v39, v88
	v_add_f32_e32 v18, v41, v19
	s_delay_alu instid0(VALU_DEP_3) | instskip(NEXT) | instid1(VALU_DEP_3)
	v_dual_mul_f32 v75, 0xbf6f5d39, v75 :: v_dual_add_f32 v56, v69, v56
	v_dual_sub_f32 v39, v49, v60 :: v_dual_add_f32 v12, v12, v38
	s_delay_alu instid0(VALU_DEP_3) | instskip(NEXT) | instid1(VALU_DEP_3)
	v_add_f32_e32 v18, v18, v29
	v_dual_sub_f32 v38, v42, v58 :: v_dual_sub_f32 v63, v65, v75
	s_delay_alu instid0(VALU_DEP_3) | instskip(NEXT) | instid1(VALU_DEP_3)
	v_add_f32_e32 v31, v39, v31
	v_dual_sub_f32 v39, v53, v70 :: v_dual_add_f32 v18, v18, v25
	s_delay_alu instid0(VALU_DEP_3) | instskip(SKIP_2) | instid1(VALU_DEP_4)
	v_add_f32_e32 v12, v38, v12
	v_sub_f32_e32 v38, v45, v64
	v_add_f32_e32 v56, v63, v56
	v_add_f32_e32 v31, v39, v31
	v_add_f32_e32 v9, v18, v27
	v_sub_f32_e32 v18, v46, v87
	v_add_f32_e32 v12, v38, v12
	v_dual_sub_f32 v38, v50, v68 :: v_dual_add_f32 v39, v59, v55
	s_delay_alu instid0(VALU_DEP_3) | instskip(SKIP_1) | instid1(VALU_DEP_3)
	v_dual_add_f32 v9, v21, v9 :: v_dual_add_f32 v0, v18, v0
	v_sub_f32_e32 v18, v51, v66
	v_add_f32_e32 v12, v38, v12
	v_mad_u32_u24 v38, v8, 52, 0
	s_delay_alu instid0(VALU_DEP_4) | instskip(NEXT) | instid1(VALU_DEP_4)
	v_dual_add_f32 v9, v23, v9 :: v_dual_add_f32 v48, v54, v48
	v_add_f32_e32 v0, v18, v0
	s_delay_alu instid0(VALU_DEP_2)
	v_add_f32_e32 v18, v52, v48
	ds_store_2addr_b32 v38, v9, v12 offset1:1
	ds_store_2addr_b32 v38, v0, v31 offset0:2 offset1:3
	ds_store_2addr_b32 v38, v18, v56 offset0:4 offset1:5
	;; [unrolled: 1-line block ×5, first 2 shown]
	ds_store_b32 v38, v15 offset:48
.LBB0_13:
	s_wait_alu 0xfffe
	s_or_b32 exec_lo, exec_lo, s1
	v_sub_f32_e32 v4, v4, v21
	v_sub_f32_e32 v48, v6, v23
	v_dual_add_f32 v6, v7, v24 :: v_dual_sub_f32 v25, v36, v25
	s_delay_alu instid0(VALU_DEP_3) | instskip(NEXT) | instid1(VALU_DEP_3)
	v_dual_sub_f32 v74, v32, v19 :: v_dual_mul_f32 v49, 0xbf6f5d39, v4
	v_mul_f32_e32 v58, 0xbeedf032, v48
	v_dual_mul_f32 v55, 0xbf6f5d39, v48 :: v_dual_add_f32 v0, v5, v22
	v_mul_f32_e32 v53, 0xbf52af12, v48
	v_mul_f32_e32 v50, 0xbf52af12, v4
	s_delay_alu instid0(VALU_DEP_4)
	v_fma_f32 v9, 0x3f62ad3f, v6, -v58
	global_wb scope:SCOPE_SE
	s_wait_dscnt 0x0
	v_fma_f32 v38, 0xbeb58ec6, v0, -v49
	s_barrier_signal -1
	s_barrier_wait -1
	v_add_f32_e32 v9, v1, v9
	v_fma_f32 v21, 0xbeb58ec6, v6, -v55
	v_fma_f32 v12, 0x3f116cb1, v6, -v53
	global_inv scope:SCOPE_SE
	v_mul_f32_e32 v73, 0xbe750f2a, v4
	v_mul_f32_e32 v64, 0xbf6f5d39, v25
	v_add_f32_e32 v39, v1, v21
	v_sub_f32_e32 v21, v2, v27
	v_fma_f32 v31, 0x3f116cb1, v0, -v50
	v_mul_f32_e32 v56, 0xbf29c268, v48
	v_fma_f32 v27, 0xbf788fa5, v0, -v73
	s_delay_alu instid0(VALU_DEP_4) | instskip(NEXT) | instid1(VALU_DEP_4)
	v_dual_add_f32 v12, v1, v12 :: v_dual_mul_f32 v51, 0xbf7e222b, v21
	v_add_f32_e32 v9, v31, v9
	s_delay_alu instid0(VALU_DEP_4) | instskip(NEXT) | instid1(VALU_DEP_1)
	v_fma_f32 v23, 0xbf3f9e67, v6, -v56
	v_dual_mul_f32 v54, 0xbf7e222b, v48 :: v_dual_add_f32 v23, v1, v23
	s_delay_alu instid0(VALU_DEP_1) | instskip(NEXT) | instid1(VALU_DEP_1)
	v_fma_f32 v18, 0x3df6dbef, v6, -v54
	v_dual_add_f32 v18, v1, v18 :: v_dual_mul_f32 v63, 0x3f29c268, v4
	s_delay_alu instid0(VALU_DEP_1) | instskip(NEXT) | instid1(VALU_DEP_2)
	v_add_f32_e32 v18, v27, v18
	v_fma_f32 v31, 0xbf3f9e67, v0, -v63
	v_dual_add_f32 v12, v38, v12 :: v_dual_mul_f32 v65, 0x3f6f5d39, v21
	s_delay_alu instid0(VALU_DEP_2) | instskip(SKIP_1) | instid1(VALU_DEP_1)
	v_add_f32_e32 v27, v31, v39
	v_mul_f32_e32 v61, 0x3f7e222b, v4
	v_fma_f32 v38, 0x3df6dbef, v0, -v61
	s_delay_alu instid0(VALU_DEP_1) | instskip(NEXT) | instid1(VALU_DEP_1)
	v_dual_add_f32 v2, v3, v28 :: v_dual_add_f32 v31, v38, v23
	v_fma_f32 v40, 0x3df6dbef, v2, -v51
	v_mul_f32_e32 v52, 0xbe750f2a, v21
	v_fma_f32 v36, 0xbeb58ec6, v2, -v65
	s_delay_alu instid0(VALU_DEP_3) | instskip(NEXT) | instid1(VALU_DEP_3)
	v_add_f32_e32 v9, v9, v40
	v_fma_f32 v23, 0xbf788fa5, v2, -v52
	s_delay_alu instid0(VALU_DEP_3) | instskip(NEXT) | instid1(VALU_DEP_2)
	v_dual_add_f32 v18, v18, v36 :: v_dual_mul_f32 v59, 0xbf52af12, v21
	v_dual_add_f32 v12, v12, v23 :: v_dual_add_f32 v23, v37, v26
	v_mul_f32_e32 v57, 0x3eedf032, v21
	s_delay_alu instid0(VALU_DEP_3) | instskip(NEXT) | instid1(VALU_DEP_3)
	v_fma_f32 v39, 0x3f116cb1, v2, -v59
	v_fma_f32 v36, 0xbeb58ec6, v23, -v64
	s_delay_alu instid0(VALU_DEP_3) | instskip(NEXT) | instid1(VALU_DEP_2)
	v_fma_f32 v38, 0x3f62ad3f, v2, -v57
	v_add_f32_e32 v9, v36, v9
	v_sub_f32_e32 v36, v34, v29
	s_delay_alu instid0(VALU_DEP_1) | instskip(NEXT) | instid1(VALU_DEP_4)
	v_dual_mul_f32 v72, 0xbf29c268, v36 :: v_dual_add_f32 v31, v31, v39
	v_dual_mul_f32 v60, 0xbf7e222b, v25 :: v_dual_add_f32 v27, v27, v38
	v_mul_f32_e32 v68, 0x3f29c268, v25
	s_delay_alu instid0(VALU_DEP_2) | instskip(SKIP_1) | instid1(VALU_DEP_3)
	v_fma_f32 v40, 0x3df6dbef, v23, -v60
	v_mul_f32_e32 v62, 0x3e750f2a, v25
	v_fma_f32 v38, 0xbf3f9e67, v23, -v68
	s_delay_alu instid0(VALU_DEP_3) | instskip(NEXT) | instid1(VALU_DEP_3)
	v_add_f32_e32 v29, v40, v27
	v_fma_f32 v41, 0xbf788fa5, v23, -v62
	s_delay_alu instid0(VALU_DEP_1) | instskip(SKIP_3) | instid1(VALU_DEP_3)
	v_dual_add_f32 v12, v38, v12 :: v_dual_add_f32 v31, v41, v31
	v_dual_add_f32 v27, v35, v30 :: v_dual_mul_f32 v66, 0x3e750f2a, v36
	v_mul_f32_e32 v70, 0x3f7e222b, v36
	v_mul_f32_e32 v67, 0x3eedf032, v36
	v_fma_f32 v34, 0xbf3f9e67, v27, -v72
	v_mul_f32_e32 v71, 0xbf52af12, v36
	s_delay_alu instid0(VALU_DEP_4)
	v_fma_f32 v38, 0x3df6dbef, v27, -v70
	v_mul_f32_e32 v69, 0x3eedf032, v25
	v_fma_f32 v40, 0xbf788fa5, v27, -v66
	v_add_f32_e32 v80, v34, v9
	v_fma_f32 v41, 0x3f62ad3f, v27, -v67
	v_add_f32_e32 v38, v38, v12
	;; [unrolled: 2-line block ×3, first 2 shown]
	v_lshl_add_u32 v29, v8, 2, 0
	v_add_f32_e32 v34, v33, v20
	v_add_f32_e32 v82, v41, v31
	;; [unrolled: 1-line block ×3, first 2 shown]
	v_fma_f32 v39, 0x3f116cb1, v27, -v71
	v_add_nc_u32_e32 v9, 0x500, v29
	v_mul_f32_e32 v78, 0x3eedf032, v74
	v_mul_f32_e32 v76, 0x3f52af12, v74
	;; [unrolled: 1-line block ×3, first 2 shown]
	v_add_f32_e32 v39, v39, v18
	v_mul_f32_e32 v75, 0xbf6f5d39, v74
	v_fma_f32 v31, 0x3f62ad3f, v34, -v78
	v_fma_f32 v84, 0x3f116cb1, v34, -v76
	v_mul_f32_e32 v77, 0xbf29c268, v74
	v_add_nc_u32_e32 v12, 0xb00, v29
	v_fma_f32 v19, 0xbf788fa5, v34, -v79
	s_delay_alu instid0(VALU_DEP_4) | instskip(NEXT) | instid1(VALU_DEP_4)
	v_dual_add_f32 v31, v31, v38 :: v_dual_add_f32 v38, v84, v81
	v_fma_f32 v83, 0xbf3f9e67, v34, -v77
	v_add_nc_u32_e32 v18, 0x1000, v29
	v_fma_f32 v85, 0xbeb58ec6, v34, -v75
	v_add_f32_e32 v32, v19, v80
	s_delay_alu instid0(VALU_DEP_4)
	v_add_f32_e32 v39, v83, v39
	ds_load_2addr_b32 v[42:43], v29 offset1:182
	ds_load_2addr_b32 v[46:47], v9 offset0:44 offset1:226
	ds_load_2addr_b32 v[40:41], v12 offset0:24 offset1:206
	;; [unrolled: 1-line block ×3, first 2 shown]
	v_add_f32_e32 v19, v85, v82
	global_wb scope:SCOPE_SE
	s_wait_dscnt 0x0
	s_barrier_signal -1
	s_barrier_wait -1
	global_inv scope:SCOPE_SE
	s_and_saveexec_b32 s1, s0
	s_cbranch_execz .LBB0_15
; %bb.14:
	v_dual_add_f32 v7, v1, v7 :: v_dual_mul_f32 v80, 0x3f62ad3f, v6
	v_mul_f32_e32 v82, 0x3df6dbef, v6
	v_dual_mul_f32 v81, 0x3f116cb1, v6 :: v_dual_mul_f32 v84, 0x3f116cb1, v0
	s_delay_alu instid0(VALU_DEP_3) | instskip(SKIP_2) | instid1(VALU_DEP_3)
	v_dual_add_f32 v5, v7, v5 :: v_dual_mul_f32 v86, 0xbf788fa5, v0
	v_dual_mul_f32 v83, 0xbeb58ec6, v6 :: v_dual_mul_f32 v92, 0xbeb58ec6, v23
	v_mul_f32_e32 v7, 0xbf3f9e67, v6
	v_add_f32_e32 v3, v5, v3
	v_dual_mul_f32 v5, 0xbf3f9e67, v0 :: v_dual_add_f32 v58, v80, v58
	v_mul_f32_e32 v93, 0x3f62ad3f, v23
	v_dual_mul_f32 v85, 0xbeb58ec6, v0 :: v_dual_mul_f32 v102, 0xbeb58ec6, v34
	s_delay_alu instid0(VALU_DEP_4) | instskip(SKIP_2) | instid1(VALU_DEP_3)
	v_dual_add_f32 v3, v3, v37 :: v_dual_mul_f32 v90, 0x3f62ad3f, v2
	v_mul_f32_e32 v37, 0xbeb58ec6, v2
	v_dual_mul_f32 v87, 0x3df6dbef, v0 :: v_dual_mul_f32 v88, 0x3df6dbef, v2
	v_dual_add_f32 v3, v3, v35 :: v_dual_mul_f32 v100, 0x3f62ad3f, v34
	v_mul_f32_e32 v94, 0x3df6dbef, v23
	v_mul_f32_e32 v35, 0xbf3f9e67, v23
	;; [unrolled: 1-line block ×3, first 2 shown]
	s_delay_alu instid0(VALU_DEP_4) | instskip(SKIP_2) | instid1(VALU_DEP_3)
	v_dual_add_f32 v3, v3, v33 :: v_dual_mul_f32 v96, 0x3df6dbef, v27
	v_add_f32_e32 v5, v5, v63
	v_dual_mul_f32 v89, 0xbf788fa5, v2 :: v_dual_mul_f32 v98, 0xbf788fa5, v27
	v_dual_add_f32 v3, v3, v20 :: v_dual_mul_f32 v20, 0x3f62ad3f, v27
	v_mul_f32_e32 v97, 0x3f116cb1, v27
	s_delay_alu instid0(VALU_DEP_2) | instskip(SKIP_2) | instid1(VALU_DEP_3)
	v_dual_mul_f32 v4, 0x3eedf032, v4 :: v_dual_add_f32 v3, v3, v30
	v_mul_f32_e32 v30, 0xbe750f2a, v48
	v_mul_f32_e32 v48, 0x3f116cb1, v34
	v_add_f32_e32 v3, v3, v26
	v_dual_mul_f32 v95, 0xbf788fa5, v23 :: v_dual_add_f32 v26, v81, v53
	v_dual_add_f32 v53, v82, v54 :: v_dual_add_f32 v54, v83, v55
	s_delay_alu instid0(VALU_DEP_3)
	v_dual_add_f32 v3, v3, v28 :: v_dual_fmamk_f32 v28, v6, 0xbf788fa5, v30
	v_fma_f32 v6, 0xbf788fa5, v6, -v30
	v_add_f32_e32 v30, v84, v50
	v_dual_add_f32 v50, v1, v58 :: v_dual_add_f32 v7, v7, v56
	v_mul_f32_e32 v91, 0x3f116cb1, v2
	v_mul_f32_e32 v33, 0xbf3f9e67, v27
	;; [unrolled: 1-line block ×3, first 2 shown]
	s_delay_alu instid0(VALU_DEP_4) | instskip(SKIP_4) | instid1(VALU_DEP_4)
	v_add_f32_e32 v30, v30, v50
	v_dual_add_f32 v3, v22, v3 :: v_dual_add_f32 v22, v1, v26
	v_add_f32_e32 v26, v1, v53
	v_add_f32_e32 v53, v1, v54
	;; [unrolled: 1-line block ×3, first 2 shown]
	v_dual_add_f32 v3, v24, v3 :: v_dual_add_f32 v24, v1, v28
	v_add_f32_e32 v28, v85, v49
	v_dual_add_f32 v1, v1, v6 :: v_dual_add_f32 v6, v86, v73
	s_delay_alu instid0(VALU_DEP_2) | instskip(SKIP_1) | instid1(VALU_DEP_3)
	v_add_f32_e32 v22, v28, v22
	v_fmamk_f32 v28, v0, 0x3f62ad3f, v4
	v_add_f32_e32 v6, v6, v26
	v_add_f32_e32 v26, v87, v61
	v_fma_f32 v0, 0x3f62ad3f, v0, -v4
	s_delay_alu instid0(VALU_DEP_4) | instskip(SKIP_1) | instid1(VALU_DEP_3)
	v_add_f32_e32 v24, v28, v24
	v_dual_add_f32 v4, v5, v53 :: v_dual_add_f32 v5, v88, v51
	v_dual_add_f32 v7, v26, v7 :: v_dual_add_f32 v0, v0, v1
	;; [unrolled: 1-line block ×3, first 2 shown]
	v_add_f32_e32 v26, v37, v65
	v_mul_f32_e32 v21, 0xbf29c268, v21
	v_add_f32_e32 v5, v30, v5
	s_delay_alu instid0(VALU_DEP_4)
	v_dual_add_f32 v1, v22, v1 :: v_dual_add_f32 v4, v4, v28
	v_add_f32_e32 v22, v91, v59
	v_add_f32_e32 v6, v6, v26
	v_fmamk_f32 v26, v2, 0xbf3f9e67, v21
	v_fma_f32 v2, 0xbf3f9e67, v2, -v21
	v_add_f32_e32 v21, v92, v64
	v_add_f32_e32 v7, v7, v22
	s_delay_alu instid0(VALU_DEP_3) | instskip(SKIP_1) | instid1(VALU_DEP_4)
	v_add_f32_e32 v0, v0, v2
	v_add_f32_e32 v2, v93, v69
	v_dual_add_f32 v22, v24, v26 :: v_dual_add_f32 v5, v21, v5
	v_dual_add_f32 v24, v35, v68 :: v_dual_mul_f32 v21, 0x3f52af12, v25
	s_delay_alu instid0(VALU_DEP_3) | instskip(NEXT) | instid1(VALU_DEP_2)
	v_add_f32_e32 v2, v2, v6
	v_dual_add_f32 v6, v95, v62 :: v_dual_add_f32 v1, v24, v1
	s_delay_alu instid0(VALU_DEP_3) | instskip(SKIP_2) | instid1(VALU_DEP_3)
	v_dual_add_f32 v24, v94, v60 :: v_dual_fmamk_f32 v25, v23, 0x3f116cb1, v21
	v_fma_f32 v21, 0x3f116cb1, v23, -v21
	v_add_f32_e32 v23, v33, v72
	v_add_f32_e32 v4, v24, v4
	s_delay_alu instid0(VALU_DEP_2) | instskip(SKIP_4) | instid1(VALU_DEP_4)
	v_dual_add_f32 v0, v21, v0 :: v_dual_add_f32 v5, v23, v5
	v_add_f32_e32 v21, v96, v70
	v_dual_mul_f32 v23, 0xbf6f5d39, v36 :: v_dual_add_f32 v6, v6, v7
	v_add_f32_e32 v7, v25, v22
	v_add_f32_e32 v22, v97, v71
	v_dual_add_f32 v24, v98, v66 :: v_dual_add_f32 v1, v21, v1
	s_delay_alu instid0(VALU_DEP_2) | instskip(SKIP_1) | instid1(VALU_DEP_2)
	v_dual_fmamk_f32 v21, v27, 0xbeb58ec6, v23 :: v_dual_add_f32 v2, v22, v2
	v_fma_f32 v22, 0xbeb58ec6, v27, -v23
	v_add_f32_e32 v7, v21, v7
	s_delay_alu instid0(VALU_DEP_2) | instskip(SKIP_2) | instid1(VALU_DEP_3)
	v_dual_add_f32 v21, v100, v78 :: v_dual_add_f32 v0, v22, v0
	v_add_f32_e32 v20, v20, v67
	v_add_f32_e32 v22, v101, v77
	;; [unrolled: 1-line block ×4, first 2 shown]
	s_delay_alu instid0(VALU_DEP_4) | instskip(SKIP_2) | instid1(VALU_DEP_2)
	v_add_f32_e32 v6, v20, v6
	v_add_f32_e32 v20, v99, v79
	;; [unrolled: 1-line block ×3, first 2 shown]
	v_dual_add_f32 v22, v102, v75 :: v_dual_add_f32 v5, v20, v5
	v_mul_f32_e32 v20, 0x3f7e222b, v74
	s_delay_alu instid0(VALU_DEP_1) | instskip(SKIP_1) | instid1(VALU_DEP_2)
	v_dual_add_f32 v4, v24, v4 :: v_dual_fmamk_f32 v23, v34, 0x3df6dbef, v20
	v_fma_f32 v20, 0x3df6dbef, v34, -v20
	v_add_f32_e32 v4, v21, v4
	v_mad_u32_u24 v21, v8, 48, v29
	s_delay_alu instid0(VALU_DEP_4) | instskip(NEXT) | instid1(VALU_DEP_4)
	v_dual_add_f32 v7, v23, v7 :: v_dual_add_f32 v6, v22, v6
	v_add_f32_e32 v0, v20, v0
	ds_store_2addr_b32 v21, v3, v5 offset1:1
	ds_store_2addr_b32 v21, v1, v2 offset0:2 offset1:3
	ds_store_2addr_b32 v21, v4, v6 offset0:4 offset1:5
	;; [unrolled: 1-line block ×5, first 2 shown]
	ds_store_b32 v21, v32 offset:48
.LBB0_15:
	s_wait_alu 0xfffe
	s_or_b32 exec_lo, exec_lo, s1
	v_and_b32_e32 v0, 0xff, v8
	v_add_nc_u32_e32 v28, 0xb6, v8
	global_wb scope:SCOPE_SE
	s_wait_dscnt 0x0
	s_barrier_signal -1
	s_barrier_wait -1
	v_mul_lo_u16 v34, 0x4f, v0
	v_and_b32_e32 v0, 0xffff, v28
	global_inv scope:SCOPE_SE
	v_add_nc_u32_e32 v36, 0xd00, v29
	v_cmp_gt_u32_e64 s0, 26, v8
	v_lshrrev_b16 v26, 10, v34
	v_mul_u32_u24_e32 v33, 0x4ec5, v0
	s_delay_alu instid0(VALU_DEP_2) | instskip(NEXT) | instid1(VALU_DEP_2)
	v_mul_lo_u16 v0, v26, 13
	v_lshrrev_b32_e32 v27, 18, v33
	s_delay_alu instid0(VALU_DEP_2) | instskip(NEXT) | instid1(VALU_DEP_2)
	v_sub_nc_u16 v0, v8, v0
	v_mul_lo_u16 v1, v27, 13
	s_delay_alu instid0(VALU_DEP_2) | instskip(NEXT) | instid1(VALU_DEP_2)
	v_and_b32_e32 v30, 0xff, v0
	v_sub_nc_u16 v0, v28, v1
	s_delay_alu instid0(VALU_DEP_2) | instskip(NEXT) | instid1(VALU_DEP_2)
	v_mul_u32_u24_e32 v1, 3, v30
	v_and_b32_e32 v35, 0xffff, v0
	s_delay_alu instid0(VALU_DEP_2) | instskip(NEXT) | instid1(VALU_DEP_2)
	v_lshlrev_b32_e32 v4, 3, v1
	v_mul_u32_u24_e32 v5, 3, v35
	s_clause 0x1
	global_load_b128 v[0:3], v4, s[4:5]
	global_load_b64 v[20:21], v4, s[4:5] offset:16
	v_lshlrev_b32_e32 v22, 3, v5
	s_clause 0x1
	global_load_b128 v[4:7], v22, s[4:5]
	global_load_b64 v[22:23], v22, s[4:5] offset:16
	ds_load_2addr_b32 v[49:50], v9 offset0:44 offset1:226
	ds_load_2addr_b32 v[24:25], v12 offset0:24 offset1:206
	;; [unrolled: 1-line block ×3, first 2 shown]
	v_and_b32_e32 v9, 0xffff, v26
	v_mul_u32_u24_e32 v12, 0xd0, v27
	v_lshlrev_b32_e32 v18, 2, v30
	v_lshlrev_b32_e32 v30, 2, v35
	v_add_nc_u32_e32 v35, 0x600, v29
	v_mul_u32_u24_e32 v9, 0xd0, v9
	ds_load_2addr_b32 v[26:27], v29 offset1:182
	global_wb scope:SCOPE_SE
	s_wait_loadcnt_dscnt 0x0
	v_add3_u32 v37, 0, v12, v30
	s_barrier_signal -1
	s_barrier_wait -1
	global_inv scope:SCOPE_SE
	v_mul_f32_e32 v12, v24, v3
	s_delay_alu instid0(VALU_DEP_1)
	v_fma_f32 v12, v40, v2, -v12
	v_mul_f32_e32 v30, v52, v23
	v_mul_f32_e32 v23, v45, v23
	v_add3_u32 v48, 0, v9, v18
	v_mul_f32_e32 v9, v49, v1
	v_mul_f32_e32 v1, v46, v1
	;; [unrolled: 1-line block ×4, first 2 shown]
	v_fmac_f32_e32 v23, v52, v22
	v_fma_f32 v9, v46, v0, -v9
	v_fmac_f32_e32 v1, v49, v0
	v_fma_f32 v18, v44, v20, -v18
	v_dual_fmac_f32 v21, v51, v20 :: v_dual_mul_f32 v20, v50, v5
	v_dual_mul_f32 v0, v47, v5 :: v_dual_mul_f32 v5, v25, v7
	s_delay_alu instid0(VALU_DEP_2) | instskip(NEXT) | instid1(VALU_DEP_2)
	v_fma_f32 v20, v47, v4, -v20
	v_fmac_f32_e32 v0, v50, v4
	s_delay_alu instid0(VALU_DEP_3) | instskip(SKIP_3) | instid1(VALU_DEP_4)
	v_fma_f32 v4, v41, v6, -v5
	v_fma_f32 v5, v45, v22, -v30
	v_sub_f32_e32 v45, v1, v21
	v_sub_f32_e32 v18, v9, v18
	;; [unrolled: 1-line block ×3, first 2 shown]
	s_delay_alu instid0(VALU_DEP_4) | instskip(NEXT) | instid1(VALU_DEP_3)
	v_sub_f32_e32 v44, v20, v5
	v_fma_f32 v9, v9, 2.0, -v18
	v_sub_f32_e32 v22, v42, v12
	s_delay_alu instid0(VALU_DEP_4) | instskip(NEXT) | instid1(VALU_DEP_4)
	v_fma_f32 v21, v43, 2.0, -v4
	v_fma_f32 v20, v20, 2.0, -v44
	s_delay_alu instid0(VALU_DEP_3) | instskip(SKIP_1) | instid1(VALU_DEP_3)
	v_fma_f32 v5, v42, 2.0, -v22
	v_sub_f32_e32 v42, v0, v23
	v_sub_f32_e32 v20, v21, v20
	s_delay_alu instid0(VALU_DEP_3) | instskip(NEXT) | instid1(VALU_DEP_3)
	v_sub_f32_e32 v9, v5, v9
	v_dual_sub_f32 v23, v22, v45 :: v_dual_sub_f32 v12, v4, v42
	s_delay_alu instid0(VALU_DEP_3) | instskip(NEXT) | instid1(VALU_DEP_3)
	v_fma_f32 v21, v21, 2.0, -v20
	v_fma_f32 v5, v5, 2.0, -v9
	s_delay_alu instid0(VALU_DEP_3) | instskip(NEXT) | instid1(VALU_DEP_4)
	v_fma_f32 v22, v22, 2.0, -v23
	v_fma_f32 v4, v4, 2.0, -v12
	ds_store_2addr_b32 v48, v9, v23 offset0:26 offset1:39
	ds_store_2addr_b32 v48, v5, v22 offset1:13
	ds_store_2addr_b32 v37, v20, v12 offset0:26 offset1:39
	ds_store_2addr_b32 v37, v21, v4 offset1:13
	global_wb scope:SCOPE_SE
	s_wait_dscnt 0x0
	s_barrier_signal -1
	s_barrier_wait -1
	global_inv scope:SCOPE_SE
	ds_load_2addr_b32 v[4:5], v29 offset1:208
	ds_load_2addr_b32 v[22:23], v35 offset0:32 offset1:240
	ds_load_2addr_b32 v[20:21], v36 offset1:208
	ds_load_b32 v30, v29 offset:4992
                                        ; implicit-def: $vgpr9
	s_and_saveexec_b32 s1, s0
	s_cbranch_execz .LBB0_17
; %bb.16:
	v_add_nc_u32_e32 v9, 0x280, v29
	v_add_nc_u32_e32 v14, 0x900, v29
	;; [unrolled: 1-line block ×3, first 2 shown]
	ds_load_2addr_b32 v[12:13], v9 offset0:22 offset1:230
	ds_load_2addr_b32 v[16:17], v14 offset0:22 offset1:230
	;; [unrolled: 1-line block ×3, first 2 shown]
	ds_load_b32 v9, v29 offset:5720
.LBB0_17:
	s_wait_alu 0xfffe
	s_or_b32 exec_lo, exec_lo, s1
	v_mul_f32_e32 v3, v40, v3
	v_mul_f32_e32 v7, v41, v7
	v_fma_f32 v0, v0, 2.0, -v42
	v_fma_f32 v1, v1, 2.0, -v45
	global_wb scope:SCOPE_SE
	s_wait_dscnt 0x0
	v_fmac_f32_e32 v3, v24, v2
	v_fmac_f32_e32 v7, v25, v6
	s_barrier_signal -1
	s_barrier_wait -1
	global_inv scope:SCOPE_SE
	v_sub_f32_e32 v2, v26, v3
	v_sub_f32_e32 v3, v27, v7
                                        ; implicit-def: $vgpr25
	s_delay_alu instid0(VALU_DEP_2) | instskip(NEXT) | instid1(VALU_DEP_2)
	v_fma_f32 v6, v26, 2.0, -v2
	v_fma_f32 v7, v27, 2.0, -v3
	v_add_f32_e32 v24, v2, v18
	s_delay_alu instid0(VALU_DEP_3) | instskip(NEXT) | instid1(VALU_DEP_3)
	v_dual_add_f32 v18, v3, v44 :: v_dual_sub_f32 v1, v6, v1
	v_sub_f32_e32 v0, v7, v0
	s_delay_alu instid0(VALU_DEP_3) | instskip(NEXT) | instid1(VALU_DEP_3)
	v_fma_f32 v2, v2, 2.0, -v24
	v_fma_f32 v3, v3, 2.0, -v18
	s_delay_alu instid0(VALU_DEP_4) | instskip(NEXT) | instid1(VALU_DEP_4)
	v_fma_f32 v6, v6, 2.0, -v1
	v_fma_f32 v7, v7, 2.0, -v0
	ds_store_2addr_b32 v48, v1, v24 offset0:26 offset1:39
	ds_store_2addr_b32 v48, v6, v2 offset1:13
	ds_store_2addr_b32 v37, v7, v3 offset1:13
	ds_store_2addr_b32 v37, v0, v18 offset0:26 offset1:39
	global_wb scope:SCOPE_SE
	s_wait_dscnt 0x0
	s_barrier_signal -1
	s_barrier_wait -1
	global_inv scope:SCOPE_SE
	ds_load_2addr_b32 v[0:1], v29 offset1:208
	ds_load_2addr_b32 v[6:7], v35 offset0:32 offset1:240
	ds_load_2addr_b32 v[2:3], v36 offset1:208
	ds_load_b32 v41, v29 offset:4992
	s_and_saveexec_b32 s1, s0
	s_cbranch_execz .LBB0_19
; %bb.18:
	v_add_nc_u32_e32 v18, 0x280, v29
	v_add_nc_u32_e32 v24, 0x900, v29
	;; [unrolled: 1-line block ×3, first 2 shown]
	ds_load_2addr_b32 v[18:19], v18 offset0:22 offset1:230
	ds_load_2addr_b32 v[38:39], v24 offset0:22 offset1:230
	;; [unrolled: 1-line block ×3, first 2 shown]
	ds_load_b32 v25, v29 offset:5720
.LBB0_19:
	s_wait_alu 0xfffe
	s_or_b32 exec_lo, exec_lo, s1
	v_lshrrev_b16 v24, 12, v34
	v_lshrrev_b32_e32 v27, 20, v33
	s_delay_alu instid0(VALU_DEP_2) | instskip(NEXT) | instid1(VALU_DEP_2)
	v_mul_lo_u16 v26, v24, 52
	v_mul_lo_u16 v27, v27, 52
	s_delay_alu instid0(VALU_DEP_2) | instskip(NEXT) | instid1(VALU_DEP_2)
	v_sub_nc_u16 v26, v8, v26
	v_sub_nc_u16 v27, v28, v27
	s_delay_alu instid0(VALU_DEP_2) | instskip(NEXT) | instid1(VALU_DEP_1)
	v_and_b32_e32 v26, 0xff, v26
	v_mul_u32_u24_e32 v33, 6, v26
	s_delay_alu instid0(VALU_DEP_1)
	v_lshlrev_b32_e32 v33, 3, v33
	s_clause 0x1
	global_load_b128 v[48:51], v33, s[4:5] offset:312
	global_load_b128 v[52:55], v33, s[4:5] offset:328
	v_and_b32_e32 v27, 0xffff, v27
	v_and_b32_e32 v24, 0xffff, v24
	s_wait_loadcnt_dscnt 0x103
	v_mul_f32_e32 v72, v1, v49
	s_delay_alu instid0(VALU_DEP_3)
	v_mul_u32_u24_e32 v34, 6, v27
	v_dual_mul_f32 v43, v5, v49 :: v_dual_mul_f32 v44, v22, v51
	s_wait_dscnt 0x2
	v_dual_mul_f32 v49, v6, v51 :: v_dual_lshlrev_b32 v26, 2, v26
	s_wait_loadcnt 0x0
	v_dual_mul_f32 v51, v7, v53 :: v_dual_lshlrev_b32 v34, 3, v34
	v_dual_mul_f32 v42, v23, v53 :: v_dual_mul_f32 v45, v20, v55
	s_clause 0x3
	global_load_b128 v[56:59], v33, s[4:5] offset:344
	global_load_b128 v[60:63], v34, s[4:5] offset:312
	;; [unrolled: 1-line block ×4, first 2 shown]
	v_mul_u32_u24_e32 v33, 0x5b0, v24
	s_wait_dscnt 0x1
	v_mul_f32_e32 v53, v2, v55
	v_lshl_add_u32 v24, v27, 2, 0
	v_fmac_f32_e32 v45, v2, v54
	v_fmac_f32_e32 v43, v1, v48
	v_add3_u32 v26, 0, v33, v26
	v_fma_f32 v5, v5, v48, -v72
	v_fma_f32 v1, v22, v50, -v49
	global_wb scope:SCOPE_SE
	s_wait_loadcnt_dscnt 0x0
	s_barrier_signal -1
	v_add_nc_u32_e32 v27, 0x200, v26
	s_barrier_wait -1
	global_inv scope:SCOPE_SE
	v_fmac_f32_e32 v44, v6, v50
	v_fma_f32 v6, v23, v52, -v51
	v_fmac_f32_e32 v42, v7, v52
	v_fma_f32 v7, v20, v54, -v53
	s_delay_alu instid0(VALU_DEP_1)
	v_add_f32_e32 v22, v6, v7
	v_mul_f32_e32 v46, v21, v57
	v_dual_mul_f32 v55, v3, v57 :: v_dual_mul_f32 v36, v14, v67
	v_mul_f32_e32 v57, v41, v59
	v_dual_mul_f32 v47, v30, v59 :: v_dual_mul_f32 v34, v13, v61
	v_dual_mul_f32 v59, v19, v61 :: v_dual_mul_f32 v40, v9, v71
	v_mul_f32_e32 v61, v38, v63
	v_dual_mul_f32 v35, v16, v63 :: v_dual_fmac_f32 v46, v3, v56
	v_mul_f32_e32 v63, v39, v65
	v_dual_mul_f32 v33, v17, v65 :: v_dual_fmac_f32 v34, v19, v60
	v_mul_f32_e32 v65, v31, v67
	v_fma_f32 v3, v30, v58, -v57
	v_sub_f32_e32 v30, v45, v42
	v_fmac_f32_e32 v47, v41, v58
	v_sub_f32_e32 v23, v44, v46
	v_fma_f32 v2, v21, v56, -v55
	v_dual_fmac_f32 v33, v39, v64 :: v_dual_fmac_f32 v40, v25, v70
	s_delay_alu instid0(VALU_DEP_4) | instskip(NEXT) | instid1(VALU_DEP_4)
	v_sub_f32_e32 v21, v43, v47
	v_add_f32_e32 v39, v30, v23
	v_sub_f32_e32 v41, v30, v23
	v_mul_f32_e32 v37, v15, v69
	v_fma_f32 v20, v13, v60, -v59
	v_dual_sub_f32 v30, v21, v30 :: v_dual_sub_f32 v23, v23, v21
	v_add_f32_e32 v21, v39, v21
	v_mul_f32_e32 v39, 0xbf08b237, v41
	v_fma_f32 v13, v16, v62, -v61
	v_fma_f32 v16, v17, v64, -v63
	v_add_f32_e32 v17, v5, v3
	s_delay_alu instid0(VALU_DEP_4) | instskip(SKIP_2) | instid1(VALU_DEP_3)
	v_dual_add_f32 v19, v1, v2 :: v_dual_fmamk_f32 v48, v30, 0x3eae86e6, v39
	v_dual_mul_f32 v67, v32, v69 :: v_dual_fmac_f32 v36, v31, v66
	v_mul_f32_e32 v41, 0x3f5ff5aa, v23
	v_dual_mul_f32 v69, v25, v71 :: v_dual_fmac_f32 v48, 0x3ee1c552, v21
	s_delay_alu instid0(VALU_DEP_4) | instskip(SKIP_1) | instid1(VALU_DEP_4)
	v_add_f32_e32 v31, v19, v17
	v_fma_f32 v23, 0x3f5ff5aa, v23, -v39
	v_fma_f32 v30, 0xbeae86e6, v30, -v41
	v_dual_fmac_f32 v35, v38, v62 :: v_dual_sub_f32 v38, v19, v17
	v_sub_f32_e32 v17, v17, v22
	s_delay_alu instid0(VALU_DEP_3) | instskip(SKIP_2) | instid1(VALU_DEP_3)
	v_dual_sub_f32 v19, v22, v19 :: v_dual_fmac_f32 v30, 0x3ee1c552, v21
	v_dual_add_f32 v22, v22, v31 :: v_dual_fmac_f32 v23, 0x3ee1c552, v21
	v_fmac_f32_e32 v37, v32, v68
	v_mul_f32_e32 v31, 0x3d64c772, v19
	v_fma_f32 v14, v14, v66, -v65
	s_delay_alu instid0(VALU_DEP_4) | instskip(SKIP_3) | instid1(VALU_DEP_4)
	v_add_f32_e32 v4, v4, v22
	v_fma_f32 v15, v15, v68, -v67
	v_fma_f32 v9, v9, v70, -v69
	;; [unrolled: 1-line block ×3, first 2 shown]
	v_fmamk_f32 v22, v22, 0xbf955555, v4
	s_delay_alu instid0(VALU_DEP_1) | instskip(NEXT) | instid1(VALU_DEP_1)
	v_add_f32_e32 v21, v31, v22
	v_dual_mul_f32 v17, 0x3f4a47b2, v17 :: v_dual_sub_f32 v32, v21, v23
	s_delay_alu instid0(VALU_DEP_1) | instskip(SKIP_2) | instid1(VALU_DEP_3)
	v_fmamk_f32 v19, v19, 0x3d64c772, v17
	v_fma_f32 v17, 0xbf3bfb3b, v38, -v17
	v_add_f32_e32 v21, v23, v21
	v_add_f32_e32 v19, v19, v22
	s_delay_alu instid0(VALU_DEP_1) | instskip(NEXT) | instid1(VALU_DEP_1)
	v_dual_add_f32 v17, v17, v22 :: v_dual_add_f32 v22, v48, v19
	v_add_f32_e32 v31, v30, v17
	v_sub_f32_e32 v17, v17, v30
	v_sub_f32_e32 v19, v19, v48
	ds_store_2addr_b32 v26, v4, v22 offset1:52
	ds_store_2addr_b32 v26, v31, v32 offset0:104 offset1:156
	ds_store_2addr_b32 v27, v21, v17 offset0:80 offset1:132
	ds_store_b32 v26, v19 offset:1248
	s_and_saveexec_b32 s1, s0
	s_cbranch_execz .LBB0_21
; %bb.20:
	v_dual_add_f32 v4, v20, v9 :: v_dual_add_f32 v19, v13, v15
	v_dual_add_f32 v17, v16, v14 :: v_dual_sub_f32 v30, v34, v40
	s_delay_alu instid0(VALU_DEP_1) | instskip(SKIP_2) | instid1(VALU_DEP_3)
	v_dual_add_f32 v23, v19, v4 :: v_dual_sub_f32 v22, v4, v17
	v_sub_f32_e32 v31, v17, v19
	v_dual_sub_f32 v21, v36, v33 :: v_dual_sub_f32 v4, v19, v4
	v_dual_add_f32 v17, v17, v23 :: v_dual_mul_f32 v22, 0x3f4a47b2, v22
	s_delay_alu instid0(VALU_DEP_1) | instskip(NEXT) | instid1(VALU_DEP_4)
	v_add_f32_e32 v12, v12, v17
	v_dual_sub_f32 v25, v35, v37 :: v_dual_mul_f32 v38, 0x3d64c772, v31
	s_delay_alu instid0(VALU_DEP_3) | instskip(SKIP_1) | instid1(VALU_DEP_4)
	v_fmamk_f32 v31, v31, 0x3d64c772, v22
	v_fma_f32 v22, 0xbf3bfb3b, v4, -v22
	v_fmamk_f32 v17, v17, 0xbf955555, v12
	s_delay_alu instid0(VALU_DEP_4) | instskip(SKIP_2) | instid1(VALU_DEP_1)
	v_sub_f32_e32 v23, v21, v25
	v_sub_f32_e32 v32, v25, v30
	v_fma_f32 v4, 0x3f3bfb3b, v4, -v38
	v_dual_mul_f32 v23, 0xbf08b237, v23 :: v_dual_add_f32 v4, v4, v17
	v_sub_f32_e32 v39, v30, v21
	v_add_f32_e32 v21, v21, v25
	s_delay_alu instid0(VALU_DEP_3) | instskip(NEXT) | instid1(VALU_DEP_2)
	v_fma_f32 v25, 0x3f5ff5aa, v32, -v23
	v_add_f32_e32 v21, v21, v30
	s_delay_alu instid0(VALU_DEP_1) | instskip(NEXT) | instid1(VALU_DEP_1)
	v_fmac_f32_e32 v25, 0x3ee1c552, v21
	v_add_f32_e32 v30, v25, v4
	v_dual_sub_f32 v4, v4, v25 :: v_dual_mul_f32 v19, 0x3f5ff5aa, v32
	v_dual_add_f32 v22, v22, v17 :: v_dual_fmamk_f32 v23, v39, 0x3eae86e6, v23
	v_add_f32_e32 v17, v31, v17
	v_add_nc_u32_e32 v31, 0x1000, v24
	s_delay_alu instid0(VALU_DEP_4) | instskip(NEXT) | instid1(VALU_DEP_4)
	v_fma_f32 v19, 0xbeae86e6, v39, -v19
	v_fmac_f32_e32 v23, 0x3ee1c552, v21
	s_delay_alu instid0(VALU_DEP_2) | instskip(NEXT) | instid1(VALU_DEP_2)
	v_fmac_f32_e32 v19, 0x3ee1c552, v21
	v_add_f32_e32 v25, v23, v17
	v_sub_f32_e32 v17, v17, v23
	s_delay_alu instid0(VALU_DEP_3)
	v_sub_f32_e32 v21, v22, v19
	v_dual_add_f32 v19, v19, v22 :: v_dual_add_nc_u32 v22, 0x1400, v24
	ds_store_2addr_b32 v31, v12, v25 offset0:68 offset1:120
	ds_store_2addr_b32 v31, v19, v4 offset0:172 offset1:224
	;; [unrolled: 1-line block ×3, first 2 shown]
	ds_store_b32 v24, v17 offset:5616
.LBB0_21:
	s_wait_alu 0xfffe
	s_or_b32 exec_lo, exec_lo, s1
	v_add_f32_e32 v4, v43, v47
	v_dual_add_f32 v12, v44, v46 :: v_dual_sub_f32 v3, v5, v3
	v_add_f32_e32 v5, v42, v45
	v_sub_f32_e32 v1, v1, v2
	s_delay_alu instid0(VALU_DEP_3) | instskip(SKIP_1) | instid1(VALU_DEP_4)
	v_dual_sub_f32 v2, v7, v6 :: v_dual_sub_f32 v7, v12, v4
	v_add_f32_e32 v6, v12, v4
	v_sub_f32_e32 v4, v4, v5
	s_delay_alu instid0(VALU_DEP_3) | instskip(SKIP_1) | instid1(VALU_DEP_4)
	v_dual_sub_f32 v12, v5, v12 :: v_dual_add_f32 v17, v2, v1
	v_add_nc_u32_e32 v21, 0x1000, v29
	v_dual_add_f32 v5, v5, v6 :: v_dual_sub_f32 v6, v2, v1
	v_dual_sub_f32 v1, v1, v3 :: v_dual_sub_f32 v2, v3, v2
	s_delay_alu instid0(VALU_DEP_4) | instskip(NEXT) | instid1(VALU_DEP_3)
	v_dual_add_f32 v22, v17, v3 :: v_dual_mul_f32 v3, 0x3d64c772, v12
	v_dual_add_f32 v23, v0, v5 :: v_dual_mul_f32 v0, 0x3f4a47b2, v4
	global_wb scope:SCOPE_SE
	s_wait_dscnt 0x0
	s_barrier_signal -1
	v_fma_f32 v3, 0x3f3bfb3b, v7, -v3
	v_fmamk_f32 v5, v5, 0xbf955555, v23
	v_fmamk_f32 v12, v12, 0x3d64c772, v0
	v_fma_f32 v0, 0xbf3bfb3b, v7, -v0
	s_barrier_wait -1
	global_inv scope:SCOPE_SE
	v_add_f32_e32 v32, v3, v5
	v_mul_f32_e32 v4, 0xbf08b237, v6
	v_add_f32_e32 v38, v0, v5
	v_mul_f32_e32 v6, 0x3f5ff5aa, v1
	v_add_f32_e32 v12, v12, v5
	s_delay_alu instid0(VALU_DEP_4) | instskip(NEXT) | instid1(VALU_DEP_3)
	v_fma_f32 v30, 0x3f5ff5aa, v1, -v4
	v_fma_f32 v31, 0xbeae86e6, v2, -v6
	s_delay_alu instid0(VALU_DEP_2) | instskip(NEXT) | instid1(VALU_DEP_2)
	v_fmac_f32_e32 v30, 0x3ee1c552, v22
	v_fmac_f32_e32 v31, 0x3ee1c552, v22
	s_delay_alu instid0(VALU_DEP_2) | instskip(SKIP_1) | instid1(VALU_DEP_3)
	v_add_f32_e32 v41, v30, v32
	v_fmamk_f32 v25, v2, 0x3eae86e6, v4
	v_sub_f32_e32 v39, v38, v31
	v_add_f32_e32 v31, v31, v38
	s_delay_alu instid0(VALU_DEP_3) | instskip(SKIP_2) | instid1(VALU_DEP_3)
	v_fmac_f32_e32 v25, 0x3ee1c552, v22
	v_dual_sub_f32 v30, v32, v30 :: v_dual_add_nc_u32 v17, 0xb00, v29
	v_add_nc_u32_e32 v19, 0x500, v29
	v_sub_f32_e32 v22, v12, v25
	v_add_f32_e32 v12, v25, v12
	ds_load_2addr_b32 v[0:1], v29 offset1:182
	ds_load_2addr_b32 v[6:7], v17 offset0:24 offset1:206
	ds_load_2addr_b32 v[2:3], v19 offset0:44 offset1:226
	;; [unrolled: 1-line block ×3, first 2 shown]
	global_wb scope:SCOPE_SE
	s_wait_dscnt 0x0
	s_barrier_signal -1
	s_barrier_wait -1
	global_inv scope:SCOPE_SE
	ds_store_2addr_b32 v26, v23, v22 offset1:52
	ds_store_2addr_b32 v26, v39, v41 offset0:104 offset1:156
	ds_store_2addr_b32 v27, v30, v31 offset0:80 offset1:132
	ds_store_b32 v26, v12 offset:1248
	s_and_saveexec_b32 s1, s0
	s_cbranch_execz .LBB0_23
; %bb.22:
	v_dual_add_f32 v12, v34, v40 :: v_dual_sub_f32 v9, v20, v9
	v_dual_add_f32 v22, v35, v37 :: v_dual_sub_f32 v13, v13, v15
	s_delay_alu instid0(VALU_DEP_1) | instskip(SKIP_3) | instid1(VALU_DEP_2)
	v_add_f32_e32 v15, v22, v12
	v_sub_f32_e32 v14, v14, v16
	v_add_f32_e32 v20, v33, v36
	v_sub_f32_e32 v16, v22, v12
	v_dual_add_f32 v23, v14, v13 :: v_dual_sub_f32 v12, v12, v20
	v_sub_f32_e32 v22, v20, v22
	v_dual_add_f32 v15, v20, v15 :: v_dual_sub_f32 v20, v14, v13
	v_sub_f32_e32 v13, v13, v9
	s_delay_alu instid0(VALU_DEP_4) | instskip(NEXT) | instid1(VALU_DEP_4)
	v_dual_sub_f32 v14, v9, v14 :: v_dual_add_f32 v9, v23, v9
	v_mul_f32_e32 v23, 0x3d64c772, v22
	s_delay_alu instid0(VALU_DEP_4) | instskip(NEXT) | instid1(VALU_DEP_4)
	v_mul_f32_e32 v20, 0xbf08b237, v20
	v_mul_f32_e32 v25, 0x3f5ff5aa, v13
	s_delay_alu instid0(VALU_DEP_3) | instskip(NEXT) | instid1(VALU_DEP_3)
	v_fma_f32 v23, 0x3f3bfb3b, v16, -v23
	v_fma_f32 v13, 0x3f5ff5aa, v13, -v20
	s_delay_alu instid0(VALU_DEP_1) | instskip(SKIP_1) | instid1(VALU_DEP_1)
	v_dual_add_f32 v18, v18, v15 :: v_dual_fmac_f32 v13, 0x3ee1c552, v9
	v_mul_f32_e32 v12, 0x3f4a47b2, v12
	v_fmamk_f32 v22, v22, 0x3d64c772, v12
	v_fma_f32 v12, 0xbf3bfb3b, v16, -v12
	v_fmamk_f32 v16, v14, 0x3eae86e6, v20
	v_fma_f32 v14, 0xbeae86e6, v14, -v25
	s_delay_alu instid0(VALU_DEP_2) | instskip(NEXT) | instid1(VALU_DEP_2)
	v_fmac_f32_e32 v16, 0x3ee1c552, v9
	v_fmac_f32_e32 v14, 0x3ee1c552, v9
	v_fmamk_f32 v15, v15, 0xbf955555, v18
	s_delay_alu instid0(VALU_DEP_1) | instskip(SKIP_2) | instid1(VALU_DEP_3)
	v_add_f32_e32 v20, v22, v15
	v_add_f32_e32 v22, v23, v15
	;; [unrolled: 1-line block ×3, first 2 shown]
	v_sub_f32_e32 v9, v20, v16
	s_delay_alu instid0(VALU_DEP_3) | instskip(SKIP_1) | instid1(VALU_DEP_4)
	v_add_f32_e32 v23, v13, v22
	v_dual_sub_f32 v13, v22, v13 :: v_dual_add_nc_u32 v22, 0x1000, v24
	v_dual_sub_f32 v15, v12, v14 :: v_dual_add_f32 v12, v14, v12
	v_add_nc_u32_e32 v14, 0x1400, v24
	v_add_f32_e32 v16, v16, v20
	ds_store_2addr_b32 v22, v18, v9 offset0:68 offset1:120
	ds_store_2addr_b32 v22, v15, v23 offset0:172 offset1:224
	;; [unrolled: 1-line block ×3, first 2 shown]
	ds_store_b32 v24, v16 offset:5616
.LBB0_23:
	s_wait_alu 0xfffe
	s_or_b32 exec_lo, exec_lo, s1
	v_mov_b32_e32 v9, 0
	global_wb scope:SCOPE_SE
	s_wait_dscnt 0x0
	s_barrier_signal -1
	s_barrier_wait -1
	global_inv scope:SCOPE_SE
	v_lshlrev_b64_e32 v[12:13], 3, v[8:9]
	s_delay_alu instid0(VALU_DEP_1) | instskip(SKIP_1) | instid1(VALU_DEP_2)
	v_add_co_u32 v12, s0, s4, v12
	s_wait_alu 0xf1ff
	v_add_co_ci_u32_e64 v13, s0, s5, v13, s0
	s_clause 0x1
	global_load_b64 v[14:15], v[12:13], off offset:2808
	global_load_b64 v[22:23], v[12:13], off offset:4264
	ds_load_2addr_b32 v[24:25], v17 offset0:24 offset1:206
	ds_load_2addr_b32 v[26:27], v21 offset0:68 offset1:250
	ds_load_2addr_b32 v[30:31], v29 offset1:182
	ds_load_2addr_b32 v[32:33], v19 offset0:44 offset1:226
	global_wb scope:SCOPE_SE
	s_wait_loadcnt_dscnt 0x0
	s_barrier_signal -1
	s_barrier_wait -1
	global_inv scope:SCOPE_SE
	v_mul_f32_e32 v16, v6, v15
	v_mul_f32_e32 v35, v27, v23
	;; [unrolled: 1-line block ×3, first 2 shown]
	s_delay_alu instid0(VALU_DEP_3) | instskip(SKIP_4) | instid1(VALU_DEP_4)
	v_fmac_f32_e32 v16, v24, v14
	v_mul_f32_e32 v20, v7, v23
	v_mul_f32_e32 v9, v24, v15
	;; [unrolled: 1-line block ×4, first 2 shown]
	v_fmac_f32_e32 v20, v25, v22
	s_delay_alu instid0(VALU_DEP_4) | instskip(SKIP_2) | instid1(VALU_DEP_3)
	v_fma_f32 v6, v6, v14, -v9
	v_mul_f32_e32 v23, v5, v23
	v_fma_f32 v5, v5, v22, -v35
	v_dual_sub_f32 v9, v30, v16 :: v_dual_sub_f32 v6, v0, v6
	s_delay_alu instid0(VALU_DEP_3) | instskip(SKIP_1) | instid1(VALU_DEP_4)
	v_fmac_f32_e32 v23, v27, v22
	v_fma_f32 v4, v4, v14, -v34
	v_sub_f32_e32 v5, v3, v5
	s_delay_alu instid0(VALU_DEP_4) | instskip(NEXT) | instid1(VALU_DEP_4)
	v_fma_f32 v0, v0, 2.0, -v6
	v_sub_f32_e32 v16, v33, v23
	s_delay_alu instid0(VALU_DEP_4)
	v_sub_f32_e32 v4, v2, v4
	v_fmac_f32_e32 v15, v26, v14
	v_fma_f32 v7, v7, v22, -v18
	v_sub_f32_e32 v14, v31, v20
	v_fma_f32 v3, v3, 2.0, -v5
	v_fma_f32 v2, v2, 2.0, -v4
	v_sub_f32_e32 v15, v32, v15
	v_sub_f32_e32 v7, v1, v7
	v_fma_f32 v18, v30, 2.0, -v9
	v_fma_f32 v20, v31, 2.0, -v14
	;; [unrolled: 1-line block ×5, first 2 shown]
	ds_store_2addr_b32 v19, v6, v7 offset0:44 offset1:226
	ds_store_2addr_b32 v21, v4, v5 offset0:68 offset1:250
	ds_store_2addr_b32 v29, v0, v1 offset1:182
	ds_store_2addr_b32 v17, v2, v3 offset0:24 offset1:206
	global_wb scope:SCOPE_SE
	s_wait_dscnt 0x0
	s_barrier_signal -1
	s_barrier_wait -1
	global_inv scope:SCOPE_SE
	ds_load_2addr_b32 v[0:1], v29 offset1:182
	ds_load_2addr_b32 v[4:5], v17 offset0:24 offset1:206
	ds_load_2addr_b32 v[2:3], v19 offset0:44 offset1:226
	;; [unrolled: 1-line block ×3, first 2 shown]
	global_wb scope:SCOPE_SE
	s_wait_dscnt 0x0
	s_barrier_signal -1
	s_barrier_wait -1
	global_inv scope:SCOPE_SE
	ds_store_2addr_b32 v29, v18, v20 offset1:182
	ds_store_2addr_b32 v19, v9, v14 offset0:44 offset1:226
	ds_store_2addr_b32 v17, v22, v23 offset0:24 offset1:206
	;; [unrolled: 1-line block ×3, first 2 shown]
	global_wb scope:SCOPE_SE
	s_wait_dscnt 0x0
	s_barrier_signal -1
	s_barrier_wait -1
	global_inv scope:SCOPE_SE
	s_and_saveexec_b32 s0, vcc_lo
	s_cbranch_execz .LBB0_25
; %bb.24:
	s_clause 0x3
	global_load_b64 v[14:15], v[12:13], off offset:10088
	global_load_b64 v[16:17], v[12:13], off offset:8632
	;; [unrolled: 1-line block ×4, first 2 shown]
	v_mad_co_u64_u32 v[22:23], null, s8, v8, 0
	v_add_nc_u32_e32 v39, 0x16c, v8
	v_add_nc_u32_e32 v40, 0x222, v8
	;; [unrolled: 1-line block ×3, first 2 shown]
	v_add_co_u32 v46, vcc_lo, s10, v10
	v_add_nc_u32_e32 v24, 0x500, v29
	s_wait_alu 0xfffd
	v_add_co_ci_u32_e32 v47, vcc_lo, s11, v11, vcc_lo
	v_dual_mov_b32 v11, v23 :: v_dual_add_nc_u32 v36, 0x2d8, v8
	v_lshrrev_b32_e32 v33, 3, v39
	v_lshrrev_b32_e32 v34, 3, v40
	v_mad_co_u64_u32 v[31:32], null, s8, v37, 0
	v_add_nc_u32_e32 v26, 0x1000, v29
	ds_load_2addr_b32 v[20:21], v29 offset1:182
	v_mul_hi_u32 v23, 0x16816817, v33
	v_mul_hi_u32 v41, 0x16816817, v34
	v_mad_co_u64_u32 v[9:10], null, s8, v28, 0
	s_wait_loadcnt 0x0
	v_mad_co_u64_u32 v[33:34], null, s9, v8, v[11:12]
	v_dual_mov_b32 v11, v32 :: v_dual_add_nc_u32 v38, 0xb00, v29
	v_mad_co_u64_u32 v[29:30], null, s8, v36, 0
	ds_load_2addr_b32 v[24:25], v24 offset0:44 offset1:226
	ds_load_2addr_b32 v[26:27], v26 offset0:68 offset1:250
	v_mad_co_u64_u32 v[34:35], null, s9, v28, v[10:11]
	v_mov_b32_e32 v8, v30
	s_delay_alu instid0(VALU_DEP_2) | instskip(NEXT) | instid1(VALU_DEP_2)
	v_mov_b32_e32 v10, v34
	v_mad_co_u64_u32 v[35:36], null, s9, v36, v[8:9]
	v_lshrrev_b32_e32 v8, 3, v23
	v_mov_b32_e32 v23, v33
	v_mad_co_u64_u32 v[36:37], null, s9, v37, v[11:12]
	v_lshrrev_b32_e32 v11, 3, v41
	s_delay_alu instid0(VALU_DEP_4)
	v_mad_u32_u24 v41, 0x2d8, v8, v39
	ds_load_2addr_b32 v[37:38], v38 offset0:24 offset1:206
	v_lshlrev_b64_e32 v[8:9], 3, v[9:10]
	v_lshlrev_b64_e32 v[22:23], 3, v[22:23]
	v_mad_u32_u24 v43, 0x2d8, v11, v40
	v_add_nc_u32_e32 v44, 0x2d8, v41
	v_mov_b32_e32 v30, v35
	v_mov_b32_e32 v32, v36
	v_mad_co_u64_u32 v[10:11], null, s8, v41, 0
	v_mad_co_u64_u32 v[33:34], null, s8, v43, 0
	;; [unrolled: 1-line block ×3, first 2 shown]
	v_add_nc_u32_e32 v45, 0x2d8, v43
	v_lshlrev_b64_e32 v[28:29], 3, v[29:30]
	v_lshlrev_b64_e32 v[30:31], 3, v[31:32]
	v_mad_co_u64_u32 v[41:42], null, s9, v41, v[11:12]
	v_mov_b32_e32 v32, v34
	v_mad_co_u64_u32 v[39:40], null, s8, v45, 0
	v_mov_b32_e32 v11, v36
	v_add_co_u32 v22, vcc_lo, v46, v22
	s_delay_alu instid0(VALU_DEP_4) | instskip(NEXT) | instid1(VALU_DEP_3)
	v_mad_co_u64_u32 v[42:43], null, s9, v43, v[32:33]
	v_mad_co_u64_u32 v[43:44], null, s9, v44, v[11:12]
	v_dual_mov_b32 v34, v40 :: v_dual_mov_b32 v11, v41
	v_mul_f32_e32 v41, v6, v17
	s_wait_dscnt 0x1
	v_mul_f32_e32 v17, v26, v17
	s_wait_alu 0xfffd
	v_add_co_ci_u32_e32 v23, vcc_lo, v47, v23, vcc_lo
	v_mad_co_u64_u32 v[44:45], null, s9, v45, v[34:35]
	v_mov_b32_e32 v34, v42
	v_dual_mov_b32 v36, v43 :: v_dual_mul_f32 v43, v4, v13
	s_wait_dscnt 0x0
	v_mul_f32_e32 v13, v37, v13
	v_add_co_u32 v8, vcc_lo, v46, v8
	v_lshlrev_b64_e32 v[32:33], 3, v[33:34]
	v_lshlrev_b64_e32 v[34:35], 3, v[35:36]
	v_dual_mul_f32 v36, v7, v15 :: v_dual_fmac_f32 v43, v37, v12
	v_mul_f32_e32 v15, v27, v15
	s_wait_alu 0xfffd
	v_add_co_ci_u32_e32 v9, vcc_lo, v47, v9, vcc_lo
	v_dual_mov_b32 v40, v44 :: v_dual_fmac_f32 v41, v26, v16
	v_mul_f32_e32 v42, v5, v19
	v_mul_f32_e32 v19, v38, v19
	v_fma_f32 v7, v7, v14, -v15
	v_add_co_u32 v28, vcc_lo, v46, v28
	v_lshlrev_b64_e32 v[10:11], 3, v[10:11]
	s_wait_alu 0xfffd
	v_add_co_ci_u32_e32 v29, vcc_lo, v47, v29, vcc_lo
	v_fma_f32 v12, v4, v12, -v13
	v_add_co_u32 v30, vcc_lo, v46, v30
	v_dual_fmac_f32 v36, v27, v14 :: v_dual_sub_f32 v15, v20, v43
	v_fma_f32 v6, v6, v16, -v17
	v_fma_f32 v16, v5, v18, -v19
	v_dual_sub_f32 v4, v3, v7 :: v_dual_sub_f32 v7, v24, v41
	s_delay_alu instid0(VALU_DEP_4)
	v_dual_fmac_f32 v42, v38, v18 :: v_dual_sub_f32 v5, v25, v36
	s_wait_alu 0xfffd
	v_add_co_ci_u32_e32 v31, vcc_lo, v47, v31, vcc_lo
	v_add_co_u32 v10, vcc_lo, v46, v10
	v_sub_f32_e32 v14, v0, v12
	s_wait_alu 0xfffd
	v_add_co_ci_u32_e32 v11, vcc_lo, v47, v11, vcc_lo
	v_lshlrev_b64_e32 v[39:40], 3, v[39:40]
	v_add_co_u32 v32, vcc_lo, v46, v32
	v_sub_f32_e32 v13, v21, v42
	v_sub_f32_e32 v12, v1, v16
	s_wait_alu 0xfffd
	v_add_co_ci_u32_e32 v33, vcc_lo, v47, v33, vcc_lo
	v_sub_f32_e32 v6, v2, v6
	v_add_co_u32 v34, vcc_lo, v46, v34
	v_fma_f32 v19, v20, 2.0, -v15
	v_fma_f32 v18, v0, 2.0, -v14
	s_wait_alu 0xfffd
	v_add_co_ci_u32_e32 v35, vcc_lo, v47, v35, vcc_lo
	v_fma_f32 v21, v21, 2.0, -v13
	v_fma_f32 v20, v1, 2.0, -v12
	v_add_co_u32 v39, vcc_lo, v46, v39
	v_fma_f32 v1, v24, 2.0, -v7
	v_fma_f32 v0, v2, 2.0, -v6
	s_wait_alu 0xfffd
	v_add_co_ci_u32_e32 v40, vcc_lo, v47, v40, vcc_lo
	v_fma_f32 v17, v25, 2.0, -v5
	v_fma_f32 v16, v3, 2.0, -v4
	s_clause 0x7
	global_store_b64 v[22:23], v[18:19], off
	global_store_b64 v[28:29], v[14:15], off
	;; [unrolled: 1-line block ×8, first 2 shown]
.LBB0_25:
	s_nop 0
	s_sendmsg sendmsg(MSG_DEALLOC_VGPRS)
	s_endpgm
	.section	.rodata,"a",@progbits
	.p2align	6, 0x0
	.amdhsa_kernel fft_rtc_fwd_len1456_factors_13_4_7_2_2_wgs_182_tpt_182_halfLds_sp_ip_CI_sbrr_dirReg
		.amdhsa_group_segment_fixed_size 0
		.amdhsa_private_segment_fixed_size 0
		.amdhsa_kernarg_size 88
		.amdhsa_user_sgpr_count 2
		.amdhsa_user_sgpr_dispatch_ptr 0
		.amdhsa_user_sgpr_queue_ptr 0
		.amdhsa_user_sgpr_kernarg_segment_ptr 1
		.amdhsa_user_sgpr_dispatch_id 0
		.amdhsa_user_sgpr_private_segment_size 0
		.amdhsa_wavefront_size32 1
		.amdhsa_uses_dynamic_stack 0
		.amdhsa_enable_private_segment 0
		.amdhsa_system_sgpr_workgroup_id_x 1
		.amdhsa_system_sgpr_workgroup_id_y 0
		.amdhsa_system_sgpr_workgroup_id_z 0
		.amdhsa_system_sgpr_workgroup_info 0
		.amdhsa_system_vgpr_workitem_id 0
		.amdhsa_next_free_vgpr 103
		.amdhsa_next_free_sgpr 35
		.amdhsa_reserve_vcc 1
		.amdhsa_float_round_mode_32 0
		.amdhsa_float_round_mode_16_64 0
		.amdhsa_float_denorm_mode_32 3
		.amdhsa_float_denorm_mode_16_64 3
		.amdhsa_fp16_overflow 0
		.amdhsa_workgroup_processor_mode 1
		.amdhsa_memory_ordered 1
		.amdhsa_forward_progress 0
		.amdhsa_round_robin_scheduling 0
		.amdhsa_exception_fp_ieee_invalid_op 0
		.amdhsa_exception_fp_denorm_src 0
		.amdhsa_exception_fp_ieee_div_zero 0
		.amdhsa_exception_fp_ieee_overflow 0
		.amdhsa_exception_fp_ieee_underflow 0
		.amdhsa_exception_fp_ieee_inexact 0
		.amdhsa_exception_int_div_zero 0
	.end_amdhsa_kernel
	.text
.Lfunc_end0:
	.size	fft_rtc_fwd_len1456_factors_13_4_7_2_2_wgs_182_tpt_182_halfLds_sp_ip_CI_sbrr_dirReg, .Lfunc_end0-fft_rtc_fwd_len1456_factors_13_4_7_2_2_wgs_182_tpt_182_halfLds_sp_ip_CI_sbrr_dirReg
                                        ; -- End function
	.section	.AMDGPU.csdata,"",@progbits
; Kernel info:
; codeLenInByte = 10204
; NumSgprs: 37
; NumVgprs: 103
; ScratchSize: 0
; MemoryBound: 0
; FloatMode: 240
; IeeeMode: 1
; LDSByteSize: 0 bytes/workgroup (compile time only)
; SGPRBlocks: 4
; VGPRBlocks: 12
; NumSGPRsForWavesPerEU: 37
; NumVGPRsForWavesPerEU: 103
; Occupancy: 12
; WaveLimiterHint : 1
; COMPUTE_PGM_RSRC2:SCRATCH_EN: 0
; COMPUTE_PGM_RSRC2:USER_SGPR: 2
; COMPUTE_PGM_RSRC2:TRAP_HANDLER: 0
; COMPUTE_PGM_RSRC2:TGID_X_EN: 1
; COMPUTE_PGM_RSRC2:TGID_Y_EN: 0
; COMPUTE_PGM_RSRC2:TGID_Z_EN: 0
; COMPUTE_PGM_RSRC2:TIDIG_COMP_CNT: 0
	.text
	.p2alignl 7, 3214868480
	.fill 96, 4, 3214868480
	.type	__hip_cuid_dbde7cd0828d4d25,@object ; @__hip_cuid_dbde7cd0828d4d25
	.section	.bss,"aw",@nobits
	.globl	__hip_cuid_dbde7cd0828d4d25
__hip_cuid_dbde7cd0828d4d25:
	.byte	0                               ; 0x0
	.size	__hip_cuid_dbde7cd0828d4d25, 1

	.ident	"AMD clang version 19.0.0git (https://github.com/RadeonOpenCompute/llvm-project roc-6.4.0 25133 c7fe45cf4b819c5991fe208aaa96edf142730f1d)"
	.section	".note.GNU-stack","",@progbits
	.addrsig
	.addrsig_sym __hip_cuid_dbde7cd0828d4d25
	.amdgpu_metadata
---
amdhsa.kernels:
  - .args:
      - .actual_access:  read_only
        .address_space:  global
        .offset:         0
        .size:           8
        .value_kind:     global_buffer
      - .offset:         8
        .size:           8
        .value_kind:     by_value
      - .actual_access:  read_only
        .address_space:  global
        .offset:         16
        .size:           8
        .value_kind:     global_buffer
      - .actual_access:  read_only
        .address_space:  global
        .offset:         24
        .size:           8
        .value_kind:     global_buffer
      - .offset:         32
        .size:           8
        .value_kind:     by_value
      - .actual_access:  read_only
        .address_space:  global
        .offset:         40
        .size:           8
        .value_kind:     global_buffer
      - .actual_access:  read_only
        .address_space:  global
        .offset:         48
        .size:           8
        .value_kind:     global_buffer
      - .offset:         56
        .size:           4
        .value_kind:     by_value
      - .actual_access:  read_only
        .address_space:  global
        .offset:         64
        .size:           8
        .value_kind:     global_buffer
      - .actual_access:  read_only
        .address_space:  global
        .offset:         72
        .size:           8
        .value_kind:     global_buffer
      - .address_space:  global
        .offset:         80
        .size:           8
        .value_kind:     global_buffer
    .group_segment_fixed_size: 0
    .kernarg_segment_align: 8
    .kernarg_segment_size: 88
    .language:       OpenCL C
    .language_version:
      - 2
      - 0
    .max_flat_workgroup_size: 182
    .name:           fft_rtc_fwd_len1456_factors_13_4_7_2_2_wgs_182_tpt_182_halfLds_sp_ip_CI_sbrr_dirReg
    .private_segment_fixed_size: 0
    .sgpr_count:     37
    .sgpr_spill_count: 0
    .symbol:         fft_rtc_fwd_len1456_factors_13_4_7_2_2_wgs_182_tpt_182_halfLds_sp_ip_CI_sbrr_dirReg.kd
    .uniform_work_group_size: 1
    .uses_dynamic_stack: false
    .vgpr_count:     103
    .vgpr_spill_count: 0
    .wavefront_size: 32
    .workgroup_processor_mode: 1
amdhsa.target:   amdgcn-amd-amdhsa--gfx1201
amdhsa.version:
  - 1
  - 2
...

	.end_amdgpu_metadata
